;; amdgpu-corpus repo=ROCm/rocFFT kind=compiled arch=gfx1030 opt=O3
	.text
	.amdgcn_target "amdgcn-amd-amdhsa--gfx1030"
	.amdhsa_code_object_version 6
	.protected	bluestein_single_fwd_len1176_dim1_half_op_CI_CI ; -- Begin function bluestein_single_fwd_len1176_dim1_half_op_CI_CI
	.globl	bluestein_single_fwd_len1176_dim1_half_op_CI_CI
	.p2align	8
	.type	bluestein_single_fwd_len1176_dim1_half_op_CI_CI,@function
bluestein_single_fwd_len1176_dim1_half_op_CI_CI: ; @bluestein_single_fwd_len1176_dim1_half_op_CI_CI
; %bb.0:
	s_load_dwordx4 s[12:15], s[4:5], 0x28
	v_mul_u32_u24_e32 v1, 0x493, v0
	v_mov_b32_e32 v29, 0
	s_mov_b32 s0, exec_lo
	v_lshrrev_b32_e32 v1, 16, v1
	v_add_nc_u32_e32 v28, s6, v1
	s_waitcnt lgkmcnt(0)
	v_cmpx_gt_u64_e64 s[12:13], v[28:29]
	s_cbranch_execz .LBB0_31
; %bb.1:
	s_clause 0x1
	s_load_dwordx4 s[0:3], s[4:5], 0x18
	s_load_dwordx2 s[12:13], s[4:5], 0x0
	v_mul_lo_u16 v1, v1, 56
	v_sub_nc_u16 v2, v0, v1
	v_and_b32_e32 v81, 0xffff, v2
	v_or_b32_e32 v65, 0x1c0, v81
	v_lshlrev_b32_e32 v63, 2, v81
	s_waitcnt lgkmcnt(0)
	s_load_dwordx4 s[8:11], s[0:1], 0x0
	s_clause 0x5
	global_load_dword v85, v63, s[12:13]
	global_load_dword v83, v63, s[12:13] offset:224
	global_load_dword v80, v63, s[12:13] offset:448
	;; [unrolled: 1-line block ×5, first 2 shown]
	v_add_co_u32 v11, s0, s12, v63
	v_add_co_ci_u32_e64 v12, null, s13, 0, s0
	v_add_nc_u32_e32 v14, 0xc00, v63
	v_add_co_u32 v26, vcc_lo, 0x800, v11
	v_add_co_ci_u32_e32 v27, vcc_lo, 0, v12, vcc_lo
	v_add_nc_u32_e32 v16, 0x400, v63
	global_load_dword v84, v[26:27], off offset:304
	s_waitcnt lgkmcnt(0)
	v_mad_u64_u32 v[0:1], null, s10, v28, 0
	v_mad_u64_u32 v[5:6], null, s8, v65, 0
	v_mad_u64_u32 v[3:4], null, s8, v81, 0
	s_mul_i32 s1, s9, 0x24c
	s_mul_hi_u32 s7, s8, 0x24c
	v_mad_u64_u32 v[7:8], null, s11, v28, v[1:2]
	v_mov_b32_e32 v1, v6
	s_mul_i32 s0, s8, 0x24c
	v_mad_u64_u32 v[8:9], null, s9, v81, v[4:5]
	s_add_i32 s1, s7, s1
	v_mad_u64_u32 v[9:10], null, s9, v65, v[1:2]
	v_mov_b32_e32 v1, v7
	s_lshl_b64 s[16:17], s[0:1], 2
	s_mul_hi_u32 s11, s8, 0xfffffdec
	v_mov_b32_e32 v4, v8
	s_mul_i32 s10, s9, 0xfffffdec
	v_lshlrev_b64 v[0:1], 2, v[0:1]
	v_mov_b32_e32 v6, v9
	s_sub_i32 s11, s11, s8
	v_lshlrev_b64 v[3:4], 2, v[3:4]
	s_mul_i32 s6, s8, 0xfffffdec
	s_add_i32 s7, s11, s10
	v_add_co_u32 v7, vcc_lo, s14, v0
	v_add_co_ci_u32_e32 v8, vcc_lo, s15, v1, vcc_lo
	v_lshlrev_b64 v[0:1], 2, v[5:6]
	v_add_co_u32 v3, vcc_lo, v7, v3
	v_add_co_ci_u32_e32 v4, vcc_lo, v8, v4, vcc_lo
	s_lshl_b64 s[0:1], s[6:7], 2
	v_add_co_u32 v0, vcc_lo, v7, v0
	v_add_co_ci_u32_e32 v1, vcc_lo, v8, v1, vcc_lo
	v_add_co_u32 v5, vcc_lo, v3, s16
	v_add_co_ci_u32_e32 v6, vcc_lo, s17, v4, vcc_lo
	s_clause 0x2
	global_load_dword v13, v[3:4], off
	global_load_dword v17, v[5:6], off
	;; [unrolled: 1-line block ×3, first 2 shown]
	v_add_co_u32 v3, vcc_lo, v5, s0
	v_add_co_ci_u32_e32 v4, vcc_lo, s1, v6, vcc_lo
	v_add_co_u32 v0, vcc_lo, v3, s16
	v_add_co_ci_u32_e32 v1, vcc_lo, s17, v4, vcc_lo
	global_load_dword v18, v[3:4], off
	v_add_co_u32 v5, vcc_lo, v0, s0
	global_load_dword v19, v[0:1], off
	v_add_co_ci_u32_e32 v6, vcc_lo, s1, v1, vcc_lo
	v_add_co_u32 v3, vcc_lo, v5, s16
	s_clause 0x1
	global_load_dword v82, v[26:27], off offset:528
	global_load_dword v79, v[26:27], off offset:752
	v_add_co_ci_u32_e32 v4, vcc_lo, s17, v6, vcc_lo
	v_add_co_u32 v0, vcc_lo, v3, s0
	global_load_dword v20, v[5:6], off
	v_add_co_ci_u32_e32 v1, vcc_lo, s1, v4, vcc_lo
	v_add_co_u32 v7, vcc_lo, v0, s16
	global_load_dword v21, v[3:4], off
	;; [unrolled: 3-line block ×4, first 2 shown]
	v_add_co_ci_u32_e32 v4, vcc_lo, s17, v6, vcc_lo
	v_add_co_u32 v0, vcc_lo, v3, s0
	s_clause 0x1
	global_load_dword v77, v[26:27], off offset:976
	global_load_dword v75, v[26:27], off offset:1200
	v_add_co_ci_u32_e32 v1, vcc_lo, s1, v4, vcc_lo
	v_add_co_u32 v7, vcc_lo, v0, s16
	global_load_dword v29, v[5:6], off
	v_add_co_ci_u32_e32 v8, vcc_lo, s17, v1, vcc_lo
	v_add_co_u32 v9, vcc_lo, v7, s0
	global_load_dword v30, v[3:4], off
	;; [unrolled: 3-line block ×3, first 2 shown]
	v_add_co_ci_u32_e32 v6, vcc_lo, s17, v10, vcc_lo
	global_load_dword v74, v63, s[12:13] offset:1120
	global_load_dword v32, v[7:8], off
	global_load_dword v73, v[26:27], off offset:1424
	global_load_dword v9, v[9:10], off
	global_load_dword v72, v63, s[12:13] offset:1344
	global_load_dword v10, v[5:6], off
	v_add_co_u32 v3, vcc_lo, v5, s0
	v_add_co_ci_u32_e32 v4, vcc_lo, s1, v6, vcc_lo
	v_add_co_u32 v0, vcc_lo, v3, s16
	v_add_co_ci_u32_e32 v1, vcc_lo, s17, v4, vcc_lo
	v_mad_u64_u32 v[7:8], null, 0xe0, s8, v[0:1]
	s_waitcnt vmcnt(21)
	v_lshrrev_b32_e32 v33, 16, v13
	v_mul_f16_sdwa v34, v85, v13 dst_sel:DWORD dst_unused:UNUSED_PAD src0_sel:WORD_1 src1_sel:DWORD
	s_waitcnt vmcnt(20)
	v_mul_f16_sdwa v38, v84, v17 dst_sel:DWORD dst_unused:UNUSED_PAD src0_sel:WORD_1 src1_sel:DWORD
	s_waitcnt vmcnt(19)
	v_lshrrev_b32_e32 v35, 16, v15
	v_mul_f16_sdwa v36, v68, v15 dst_sel:DWORD dst_unused:UNUSED_PAD src0_sel:WORD_1 src1_sel:DWORD
	v_mul_f16_sdwa v37, v85, v33 dst_sel:DWORD dst_unused:UNUSED_PAD src0_sel:WORD_1 src1_sel:DWORD
	v_fma_f16 v33, v85, v33, -v34
	v_lshrrev_b32_e32 v34, 16, v17
	v_fma_f16 v36, v68, v35, -v36
	v_mul_f16_sdwa v35, v68, v35 dst_sel:DWORD dst_unused:UNUSED_PAD src0_sel:WORD_1 src1_sel:DWORD
	v_fmac_f16_e32 v37, v85, v13
	v_mul_f16_sdwa v13, v84, v34 dst_sel:DWORD dst_unused:UNUSED_PAD src0_sel:WORD_1 src1_sel:DWORD
	v_fma_f16 v34, v84, v34, -v38
	s_waitcnt vmcnt(18)
	v_lshrrev_b32_e32 v38, 16, v18
	v_mul_f16_sdwa v39, v83, v18 dst_sel:DWORD dst_unused:UNUSED_PAD src0_sel:WORD_1 src1_sel:DWORD
	v_fmac_f16_e32 v35, v68, v15
	v_pack_b32_f16 v15, v37, v33
	v_fmac_f16_e32 v13, v84, v17
	v_mul_f16_sdwa v17, v83, v38 dst_sel:DWORD dst_unused:UNUSED_PAD src0_sel:WORD_1 src1_sel:DWORD
	s_waitcnt vmcnt(17)
	v_lshrrev_b32_e32 v37, 16, v19
	v_fma_f16 v33, v83, v38, -v39
	s_waitcnt vmcnt(16)
	v_mul_f16_sdwa v38, v82, v19 dst_sel:DWORD dst_unused:UNUSED_PAD src0_sel:WORD_1 src1_sel:DWORD
	v_pack_b32_f16 v35, v35, v36
	v_pack_b32_f16 v13, v13, v34
	v_fmac_f16_e32 v17, v83, v18
	v_mul_f16_sdwa v18, v82, v37 dst_sel:DWORD dst_unused:UNUSED_PAD src0_sel:WORD_1 src1_sel:DWORD
	s_waitcnt vmcnt(14)
	v_lshrrev_b32_e32 v36, 16, v20
	v_fma_f16 v34, v82, v37, -v38
	v_mul_f16_sdwa v37, v80, v20 dst_sel:DWORD dst_unused:UNUSED_PAD src0_sel:WORD_1 src1_sel:DWORD
	v_fmac_f16_e32 v18, v82, v19
	v_fma_f16 v19, v80, v36, -v37
	s_waitcnt vmcnt(2)
	v_mad_u64_u32 v[5:6], null, 0xe0, s9, v[8:9]
	s_clause 0x1
	global_load_dword v71, v[26:27], off offset:1648
	global_load_dword v70, v63, s[12:13] offset:1568
	global_load_dword v6, v[3:4], off
	global_load_dword v69, v[26:27], off offset:1872
	v_add_co_u32 v3, vcc_lo, v7, s0
	v_mov_b32_e32 v8, v5
	global_load_dword v5, v[0:1], off
	v_add_co_ci_u32_e32 v4, vcc_lo, s1, v8, vcc_lo
	v_add_co_u32 v24, vcc_lo, 0x1000, v11
	v_add_co_ci_u32_e32 v25, vcc_lo, 0, v12, vcc_lo
	v_add_co_u32 v0, vcc_lo, v3, s16
	v_add_co_ci_u32_e32 v1, vcc_lo, s17, v4, vcc_lo
	global_load_dword v7, v[7:8], off
	global_load_dword v67, v[24:25], off offset:48
	global_load_dword v8, v[3:4], off
	global_load_dword v11, v[0:1], off
	s_clause 0x1
	global_load_dword v66, v63, s[12:13] offset:2016
	global_load_dword v64, v[24:25], off offset:272
	s_load_dwordx2 s[6:7], s[4:5], 0x38
	s_load_dwordx4 s[8:11], s[2:3], 0x0
	ds_write_b32 v63, v13 offset:2352
	v_pack_b32_f16 v13, v17, v33
	v_mul_f16_sdwa v17, v80, v36 dst_sel:DWORD dst_unused:UNUSED_PAD src0_sel:WORD_1 src1_sel:DWORD
	v_lshrrev_b32_e32 v33, 16, v21
	v_mul_f16_sdwa v36, v79, v21 dst_sel:DWORD dst_unused:UNUSED_PAD src0_sel:WORD_1 src1_sel:DWORD
	v_add_nc_u32_e32 v3, 0x800, v63
	ds_write2_b32 v63, v15, v13 offset1:56
	v_pack_b32_f16 v13, v18, v34
	v_fmac_f16_e32 v17, v80, v20
	v_mul_f16_sdwa v15, v79, v33 dst_sel:DWORD dst_unused:UNUSED_PAD src0_sel:WORD_1 src1_sel:DWORD
	v_lshrrev_b32_e32 v18, 16, v22
	v_fma_f16 v20, v79, v33, -v36
	v_mul_f16_sdwa v33, v78, v22 dst_sel:DWORD dst_unused:UNUSED_PAD src0_sel:WORD_1 src1_sel:DWORD
	v_pack_b32_f16 v17, v17, v19
	v_fmac_f16_e32 v15, v79, v21
	v_mul_f16_sdwa v19, v78, v18 dst_sel:DWORD dst_unused:UNUSED_PAD src0_sel:WORD_1 src1_sel:DWORD
	v_lshrrev_b32_e32 v21, 16, v23
	v_mul_f16_sdwa v34, v77, v23 dst_sel:DWORD dst_unused:UNUSED_PAD src0_sel:WORD_1 src1_sel:DWORD
	v_fma_f16 v18, v78, v18, -v33
	v_pack_b32_f16 v15, v15, v20
	v_fmac_f16_e32 v19, v78, v22
	v_mul_f16_sdwa v20, v77, v21 dst_sel:DWORD dst_unused:UNUSED_PAD src0_sel:WORD_1 src1_sel:DWORD
	v_lshrrev_b32_e32 v22, 16, v29
	v_fma_f16 v21, v77, v21, -v34
	v_mul_f16_sdwa v33, v76, v29 dst_sel:DWORD dst_unused:UNUSED_PAD src0_sel:WORD_1 src1_sel:DWORD
	ds_write2_b32 v3, v13, v15 offset0:132 offset1:188
	v_pack_b32_f16 v13, v19, v18
	v_fmac_f16_e32 v20, v77, v23
	v_mul_f16_sdwa v15, v76, v22 dst_sel:DWORD dst_unused:UNUSED_PAD src0_sel:WORD_1 src1_sel:DWORD
	v_lshrrev_b32_e32 v19, 16, v30
	v_fma_f16 v18, v76, v22, -v33
	v_mul_f16_sdwa v22, v75, v30 dst_sel:DWORD dst_unused:UNUSED_PAD src0_sel:WORD_1 src1_sel:DWORD
	ds_write2_b32 v63, v17, v13 offset0:112 offset1:168
	v_pack_b32_f16 v13, v20, v21
	v_fmac_f16_e32 v15, v76, v29
	v_mul_f16_sdwa v17, v75, v19 dst_sel:DWORD dst_unused:UNUSED_PAD src0_sel:WORD_1 src1_sel:DWORD
	v_lshrrev_b32_e32 v20, 16, v31
	v_fma_f16 v19, v75, v19, -v22
	v_mul_f16_sdwa v21, v74, v31 dst_sel:DWORD dst_unused:UNUSED_PAD src0_sel:WORD_1 src1_sel:DWORD
	v_pack_b32_f16 v15, v15, v18
	v_fmac_f16_e32 v17, v75, v30
	v_mul_f16_sdwa v18, v74, v20 dst_sel:DWORD dst_unused:UNUSED_PAD src0_sel:WORD_1 src1_sel:DWORD
	v_lshrrev_b32_e32 v22, 16, v32
	v_mul_f16_sdwa v23, v73, v32 dst_sel:DWORD dst_unused:UNUSED_PAD src0_sel:WORD_1 src1_sel:DWORD
	v_add_nc_u32_e32 v12, 0xa00, v63
	v_fma_f16 v20, v74, v20, -v21
	v_pack_b32_f16 v17, v17, v19
	v_fmac_f16_e32 v18, v74, v31
	v_mul_f16_sdwa v19, v73, v22 dst_sel:DWORD dst_unused:UNUSED_PAD src0_sel:WORD_1 src1_sel:DWORD
	v_fma_f16 v21, v73, v22, -v23
	v_lshrrev_b32_e32 v22, 16, v9
	ds_write2_b32 v12, v13, v17 offset0:116 offset1:172
	v_pack_b32_f16 v12, v18, v20
	s_waitcnt vmcnt(11)
	v_lshrrev_b32_e32 v18, 16, v10
	v_add_nc_u32_e32 v4, 0x200, v63
	v_mul_f16_sdwa v13, v72, v22 dst_sel:DWORD dst_unused:UNUSED_PAD src0_sel:WORD_1 src1_sel:DWORD
	v_fmac_f16_e32 v19, v73, v32
	v_mul_f16_sdwa v23, v72, v9 dst_sel:DWORD dst_unused:UNUSED_PAD src0_sel:WORD_1 src1_sel:DWORD
	v_cmp_gt_u16_e32 vcc_lo, 28, v2
	ds_write2_b32 v4, v15, v12 offset0:96 offset1:152
	v_fmac_f16_e32 v13, v72, v9
	v_pack_b32_f16 v12, v19, v21
	v_fma_f16 v17, v72, v22, -v23
	s_waitcnt vmcnt(10)
	v_mul_f16_sdwa v20, v71, v10 dst_sel:DWORD dst_unused:UNUSED_PAD src0_sel:WORD_1 src1_sel:DWORD
	v_mul_f16_sdwa v9, v71, v18 dst_sel:DWORD dst_unused:UNUSED_PAD src0_sel:WORD_1 src1_sel:DWORD
	s_waitcnt vmcnt(8)
	v_lshrrev_b32_e32 v15, 16, v6
	v_mul_f16_sdwa v19, v70, v6 dst_sel:DWORD dst_unused:UNUSED_PAD src0_sel:WORD_1 src1_sel:DWORD
	v_fma_f16 v18, v71, v18, -v20
	v_fmac_f16_e32 v9, v71, v10
	v_mul_f16_sdwa v10, v70, v15 dst_sel:DWORD dst_unused:UNUSED_PAD src0_sel:WORD_1 src1_sel:DWORD
	v_fma_f16 v15, v70, v15, -v19
	s_waitcnt vmcnt(6)
	v_lshrrev_b32_e32 v20, 16, v5
	v_mul_f16_sdwa v19, v69, v5 dst_sel:DWORD dst_unused:UNUSED_PAD src0_sel:WORD_1 src1_sel:DWORD
	v_pack_b32_f16 v9, v9, v18
	v_fmac_f16_e32 v10, v70, v6
	v_pack_b32_f16 v6, v13, v17
	v_mul_f16_sdwa v21, v69, v20 dst_sel:DWORD dst_unused:UNUSED_PAD src0_sel:WORD_1 src1_sel:DWORD
	v_fma_f16 v13, v69, v20, -v19
	ds_write2_b32 v14, v12, v9 offset0:100 offset1:156
	s_waitcnt vmcnt(5)
	v_lshrrev_b32_e32 v9, 16, v7
	v_fmac_f16_e32 v21, v69, v5
	v_pack_b32_f16 v5, v10, v15
	s_waitcnt vmcnt(4)
	v_mul_f16_sdwa v10, v67, v7 dst_sel:DWORD dst_unused:UNUSED_PAD src0_sel:WORD_1 src1_sel:DWORD
	s_waitcnt vmcnt(2)
	v_lshrrev_b32_e32 v15, 16, v11
	v_mul_f16_sdwa v17, v67, v9 dst_sel:DWORD dst_unused:UNUSED_PAD src0_sel:WORD_1 src1_sel:DWORD
	v_pack_b32_f16 v12, v21, v13
	v_lshrrev_b32_e32 v13, 16, v8
	v_fma_f16 v9, v67, v9, -v10
	s_waitcnt vmcnt(1)
	v_mul_f16_sdwa v10, v66, v8 dst_sel:DWORD dst_unused:UNUSED_PAD src0_sel:WORD_1 src1_sel:DWORD
	s_waitcnt vmcnt(0)
	v_mul_f16_sdwa v19, v64, v15 dst_sel:DWORD dst_unused:UNUSED_PAD src0_sel:WORD_1 src1_sel:DWORD
	v_mul_f16_sdwa v20, v64, v11 dst_sel:DWORD dst_unused:UNUSED_PAD src0_sel:WORD_1 src1_sel:DWORD
	;; [unrolled: 1-line block ×3, first 2 shown]
	v_fmac_f16_e32 v17, v67, v7
	v_fma_f16 v7, v66, v13, -v10
	v_fmac_f16_e32 v19, v64, v11
	v_add_nc_u32_e32 v10, 0xe00, v63
	v_fmac_f16_e32 v18, v66, v8
	v_fma_f16 v8, v64, v15, -v20
	v_pack_b32_f16 v9, v17, v9
	v_pack_b32_f16 v7, v18, v7
	;; [unrolled: 1-line block ×3, first 2 shown]
	ds_write2_b32 v16, v6, v5 offset0:80 offset1:136
	ds_write2_b32 v10, v12, v9 offset0:84 offset1:140
	;; [unrolled: 1-line block ×3, first 2 shown]
	ds_write_b32 v63, v8 offset:4368
	s_and_saveexec_b32 s2, vcc_lo
	s_cbranch_execz .LBB0_3
; %bb.2:
	v_add_co_u32 v0, s0, v0, s0
	v_add_co_ci_u32_e64 v1, s0, s1, v1, s0
	v_add_co_u32 v5, s0, v0, s16
	v_add_co_ci_u32_e64 v6, s0, s17, v1, s0
	global_load_dword v0, v[0:1], off
	global_load_dword v1, v[5:6], off
	s_clause 0x1
	global_load_dword v2, v[26:27], off offset:192
	global_load_dword v5, v[24:25], off offset:496
	s_waitcnt vmcnt(3)
	v_lshrrev_b32_e32 v6, 16, v0
	s_waitcnt vmcnt(2)
	v_lshrrev_b32_e32 v7, 16, v1
	s_waitcnt vmcnt(1)
	v_mul_f16_sdwa v8, v2, v0 dst_sel:DWORD dst_unused:UNUSED_PAD src0_sel:WORD_1 src1_sel:DWORD
	s_waitcnt vmcnt(0)
	v_mul_f16_sdwa v11, v5, v1 dst_sel:DWORD dst_unused:UNUSED_PAD src0_sel:WORD_1 src1_sel:DWORD
	v_mul_f16_sdwa v9, v2, v6 dst_sel:DWORD dst_unused:UNUSED_PAD src0_sel:WORD_1 src1_sel:DWORD
	;; [unrolled: 1-line block ×3, first 2 shown]
	v_fma_f16 v6, v2, v6, -v8
	v_fmac_f16_e32 v9, v2, v0
	v_fmac_f16_e32 v10, v5, v1
	v_fma_f16 v0, v5, v7, -v11
	v_pack_b32_f16 v1, v9, v6
	v_pack_b32_f16 v0, v10, v0
	ds_write_b32 v63, v1 offset:2240
	ds_write_b32 v63, v0 offset:4592
.LBB0_3:
	s_or_b32 exec_lo, exec_lo, s2
	v_add_nc_u32_e32 v17, 0x1000, v63
	s_waitcnt lgkmcnt(0)
	s_barrier
	buffer_gl0_inv
	ds_read2_b32 v[10:11], v63 offset1:56
	ds_read2_b32 v[0:1], v3 offset0:76 offset1:132
	ds_read2_b32 v[8:9], v63 offset0:112 offset1:168
	;; [unrolled: 1-line block ×9, first 2 shown]
                                        ; implicit-def: $vgpr20
                                        ; implicit-def: $vgpr21
	s_and_saveexec_b32 s0, vcc_lo
	s_cbranch_execz .LBB0_5
; %bb.4:
	ds_read_b32 v20, v63 offset:2240
	ds_read_b32 v21, v63 offset:4592
.LBB0_5:
	s_or_b32 exec_lo, exec_lo, s0
	v_add_co_u32 v23, s2, v81, 56
	v_add_co_ci_u32_e64 v22, null, 0, 0, s2
	s_load_dwordx2 s[0:1], s[4:5], 0x8
	v_add_co_u32 v22, s2, 0x70, v81
	s_waitcnt lgkmcnt(0)
	v_pk_add_f16 v36, v10, v0 neg_lo:[0,1] neg_hi:[0,1]
	v_pk_add_f16 v38, v11, v1 neg_lo:[0,1] neg_hi:[0,1]
	;; [unrolled: 1-line block ×3, first 2 shown]
	v_add_co_u32 v34, null, 0xa8, v81
	v_pk_add_f16 v13, v9, v13 neg_lo:[0,1] neg_hi:[0,1]
	v_lshlrev_b32_e32 v89, 3, v81
	v_pk_fma_f16 v35, v10, 2.0, v36 op_sel_hi:[1,0,1] neg_lo:[0,0,1] neg_hi:[0,0,1]
	v_lshlrev_b32_e32 v90, 3, v23
	v_pk_fma_f16 v37, v11, 2.0, v38 op_sel_hi:[1,0,1] neg_lo:[0,0,1] neg_hi:[0,0,1]
	;; [unrolled: 2-line block ×3, first 2 shown]
	v_add_co_u32 v33, null, 0xe0, v81
	v_pk_add_f16 v18, v6, v18 neg_lo:[0,1] neg_hi:[0,1]
	v_add_co_ci_u32_e64 v29, null, 0, 0, s2
	v_add_co_u32 v32, null, 0x118, v81
	v_add_co_u32 v31, null, 0x150, v81
	v_lshlrev_b32_e32 v29, 1, v81
	v_add_co_u32 v41, null, 0x230, v81
	v_pk_add_f16 v43, v7, v19 neg_lo:[0,1] neg_hi:[0,1]
	v_pk_add_f16 v1, v20, v21 neg_lo:[0,1] neg_hi:[0,1]
	;; [unrolled: 1-line block ×3, first 2 shown]
	s_barrier
	buffer_gl0_inv
	ds_write_b64 v89, v[35:36]
	ds_write_b64 v90, v[37:38]
	;; [unrolled: 1-line block ×3, first 2 shown]
	v_lshlrev_b32_e32 v95, 3, v34
	v_pk_fma_f16 v12, v9, 2.0, v13 op_sel_hi:[1,0,1] neg_lo:[0,0,1] neg_hi:[0,0,1]
	v_pk_add_f16 v19, v5, v15 neg_lo:[0,1] neg_hi:[0,1]
	v_pk_add_f16 v21, v3, v17 neg_lo:[0,1] neg_hi:[0,1]
	v_lshlrev_b32_e32 v97, 3, v33
	v_pk_fma_f16 v17, v6, 2.0, v18 op_sel_hi:[1,0,1] neg_lo:[0,0,1] neg_hi:[0,0,1]
	v_pk_add_f16 v16, v2, v16 neg_lo:[0,1] neg_hi:[0,1]
	v_pk_fma_f16 v0, v20, 2.0, v1 op_sel_hi:[1,0,1] neg_lo:[0,0,1] neg_hi:[0,0,1]
	v_lshlrev_b32_e32 v36, 1, v23
	v_lshlrev_b32_e32 v35, 1, v22
	;; [unrolled: 1-line block ×4, first 2 shown]
	v_pk_fma_f16 v42, v7, 2.0, v43 op_sel_hi:[1,0,1] neg_lo:[0,0,1] neg_hi:[0,0,1]
	ds_write_b64 v95, v[12:13]
	v_lshlrev_b32_e32 v40, 1, v33
	v_lshlrev_b32_e32 v38, 1, v32
	;; [unrolled: 1-line block ×4, first 2 shown]
	v_pk_fma_f16 v13, v4, 2.0, v14 op_sel_hi:[1,0,1] neg_lo:[0,0,1] neg_hi:[0,0,1]
	v_add_nc_u32_e32 v110, 0x310, v29
	v_lshlrev_b32_e32 v39, 1, v65
	v_lshlrev_b32_e32 v99, 3, v65
	v_add_nc_u32_e32 v111, 0x3f0, v29
	v_lshlrev_b32_e32 v98, 3, v41
	ds_write_b64 v97, v[17:18]
	v_pk_fma_f16 v18, v5, 2.0, v19 op_sel_hi:[1,0,1] neg_lo:[0,0,1] neg_hi:[0,0,1]
	v_lshlrev_b32_e32 v4, 2, v29
	v_pk_fma_f16 v15, v2, 2.0, v16 op_sel_hi:[1,0,1] neg_lo:[0,0,1] neg_hi:[0,0,1]
	v_pk_fma_f16 v20, v3, 2.0, v21 op_sel_hi:[1,0,1] neg_lo:[0,0,1] neg_hi:[0,0,1]
	ds_write_b64 v92, v[42:43]
	ds_write_b64 v96, v[13:14]
	ds_write_b64 v4, v[18:19] offset:3136
	ds_write_b64 v99, v[15:16]
	ds_write_b64 v4, v[20:21] offset:4032
	s_and_saveexec_b32 s2, vcc_lo
	s_cbranch_execz .LBB0_7
; %bb.6:
	ds_write_b64 v98, v[0:1]
.LBB0_7:
	s_or_b32 exec_lo, exec_lo, s2
	v_add_nc_u32_e32 v6, 0x800, v63
	v_add_nc_u32_e32 v8, 0xc00, v63
	;; [unrolled: 1-line block ×5, first 2 shown]
	s_waitcnt lgkmcnt(0)
	s_barrier
	buffer_gl0_inv
	ds_read2_b32 v[2:3], v63 offset1:56
	ds_read2_b32 v[12:13], v6 offset0:76 offset1:132
	ds_read2_b32 v[4:5], v63 offset0:112 offset1:168
	;; [unrolled: 1-line block ×9, first 2 shown]
	s_and_saveexec_b32 s2, vcc_lo
	s_cbranch_execz .LBB0_9
; %bb.8:
	ds_read_b32 v0, v63 offset:2240
	ds_read_b32 v1, v63 offset:4592
.LBB0_9:
	s_or_b32 exec_lo, exec_lo, s2
	v_and_b32_e32 v87, 1, v81
	v_lshlrev_b32_e32 v86, 1, v41
	s_waitcnt lgkmcnt(8)
	v_lshrrev_b32_e32 v45, 16, v13
	s_waitcnt lgkmcnt(6)
	v_lshrrev_b32_e32 v47, 16, v16
	v_lshrrev_b32_e32 v49, 16, v17
	v_lshlrev_b32_e32 v42, 2, v87
	v_and_or_b32 v41, 0x7c, v29, v87
	v_and_or_b32 v94, 0xfc, v36, v87
	;; [unrolled: 1-line block ×4, first 2 shown]
	global_load_dword v88, v42, s[0:1]
	v_lshrrev_b32_e32 v42, 16, v12
	v_and_or_b32 v103, 0x2fc, v38, v87
	v_and_or_b32 v112, 0x3fc, v110, v87
	;; [unrolled: 1-line block ×6, first 2 shown]
	s_waitcnt lgkmcnt(4)
	v_lshrrev_b32_e32 v51, 16, v18
	v_lshrrev_b32_e32 v53, 16, v19
	s_waitcnt lgkmcnt(2)
	v_lshrrev_b32_e32 v55, 16, v20
	v_lshrrev_b32_e32 v57, 16, v21
	;; [unrolled: 3-line block ×3, first 2 shown]
	v_lshrrev_b32_e32 v62, 16, v1
	v_lshlrev_b32_e32 v105, 2, v41
	v_lshlrev_b32_e32 v106, 2, v94
	;; [unrolled: 1-line block ×10, first 2 shown]
	v_lshrrev_b32_e32 v43, 16, v2
	v_lshrrev_b32_e32 v44, 16, v3
	;; [unrolled: 1-line block ×11, first 2 shown]
	s_waitcnt vmcnt(0)
	s_barrier
	buffer_gl0_inv
	v_mul_f16_sdwa v41, v42, v88 dst_sel:DWORD dst_unused:UNUSED_PAD src0_sel:DWORD src1_sel:WORD_1
	v_mul_f16_sdwa v94, v12, v88 dst_sel:DWORD dst_unused:UNUSED_PAD src0_sel:DWORD src1_sel:WORD_1
	;; [unrolled: 1-line block ×22, first 2 shown]
	v_fma_f16 v12, v12, v88, -v41
	v_fmac_f16_e32 v94, v42, v88
	v_fma_f16 v13, v13, v88, -v112
	v_fmac_f16_e32 v113, v45, v88
	;; [unrolled: 2-line block ×5, first 2 shown]
	v_fma_f16 v19, v19, v88, -v120
	v_fma_f16 v20, v20, v88, -v121
	;; [unrolled: 1-line block ×3, first 2 shown]
	v_fmac_f16_e32 v123, v53, v88
	v_fmac_f16_e32 v124, v55, v88
	;; [unrolled: 1-line block ×3, first 2 shown]
	v_fma_f16 v14, v14, v88, -v126
	v_fmac_f16_e32 v127, v59, v88
	v_fma_f16 v15, v15, v88, -v128
	v_fmac_f16_e32 v129, v61, v88
	;; [unrolled: 2-line block ×3, first 2 shown]
	v_sub_f16_e32 v12, v2, v12
	v_sub_f16_e32 v45, v43, v94
	;; [unrolled: 1-line block ×22, first 2 shown]
	v_fma_f16 v1, v2, 2.0, -v12
	v_fma_f16 v2, v43, 2.0, -v45
	;; [unrolled: 1-line block ×22, first 2 shown]
	v_pack_b32_f16 v0, v12, v45
	v_pack_b32_f16 v1, v1, v2
	;; [unrolled: 1-line block ×20, first 2 shown]
	ds_write2_b32 v105, v1, v0 offset1:2
	ds_write2_b32 v106, v2, v12 offset1:2
	;; [unrolled: 1-line block ×10, first 2 shown]
	s_and_saveexec_b32 s2, vcc_lo
	s_cbranch_execz .LBB0_11
; %bb.10:
	v_and_or_b32 v0, 0x4fc, v86, v87
	v_perm_b32 v1, v21, v20, 0x5040100
	v_perm_b32 v2, v42, v41, 0x5040100
	v_lshlrev_b32_e32 v0, 2, v0
	ds_write2_b32 v0, v1, v2 offset1:2
.LBB0_11:
	s_or_b32 exec_lo, exec_lo, s2
	v_add_nc_u32_e32 v4, 0x800, v63
	v_add_nc_u32_e32 v6, 0xc00, v63
	v_add_nc_u32_e32 v5, 0x200, v63
	v_add_nc_u32_e32 v7, 0x400, v63
	v_add_nc_u32_e32 v14, 0x1000, v63
	s_waitcnt lgkmcnt(0)
	s_barrier
	buffer_gl0_inv
	ds_read2_b32 v[0:1], v63 offset1:56
	ds_read2_b32 v[10:11], v4 offset0:76 offset1:132
	ds_read2_b32 v[2:3], v63 offset0:112 offset1:168
	;; [unrolled: 1-line block ×9, first 2 shown]
	s_and_saveexec_b32 s2, vcc_lo
	s_cbranch_execz .LBB0_13
; %bb.12:
	ds_read_b32 v20, v63 offset:2240
	ds_read_b32 v41, v63 offset:4592
	s_waitcnt lgkmcnt(1)
	v_lshrrev_b32_e32 v21, 16, v20
	s_waitcnt lgkmcnt(0)
	v_lshrrev_b32_e32 v42, 16, v41
.LBB0_13:
	s_or_b32 exec_lo, exec_lo, s2
	v_and_b32_e32 v93, 3, v81
	s_waitcnt lgkmcnt(8)
	v_lshrrev_b32_e32 v44, 16, v10
	v_lshrrev_b32_e32 v46, 16, v11
	s_waitcnt lgkmcnt(6)
	v_lshrrev_b32_e32 v48, 16, v12
	v_lshrrev_b32_e32 v50, 16, v13
	v_lshlrev_b32_e32 v43, 2, v93
	v_and_or_b32 v29, 0x78, v29, v93
	v_and_or_b32 v30, 0x1f8, v30, v93
	;; [unrolled: 1-line block ×4, first 2 shown]
	global_load_dword v94, v43, s[0:1] offset:8
	v_and_or_b32 v38, 0x2f8, v38, v93
	v_and_or_b32 v37, 0x3f8, v37, v93
	;; [unrolled: 1-line block ×4, first 2 shown]
	s_waitcnt lgkmcnt(4)
	v_lshrrev_b32_e32 v52, 16, v18
	v_lshrrev_b32_e32 v54, 16, v19
	s_waitcnt lgkmcnt(2)
	v_lshrrev_b32_e32 v56, 16, v16
	v_lshrrev_b32_e32 v58, 16, v17
	;; [unrolled: 3-line block ×3, first 2 shown]
	v_lshlrev_b32_e32 v117, 2, v29
	v_lshlrev_b32_e32 v120, 2, v30
	;; [unrolled: 1-line block ×8, first 2 shown]
	v_lshrrev_b32_e32 v43, 16, v0
	v_lshrrev_b32_e32 v45, 16, v1
	;; [unrolled: 1-line block ×10, first 2 shown]
	v_and_or_b32 v114, 0x3f8, v110, v93
	v_and_or_b32 v116, 0x7f8, v111, v93
	s_waitcnt vmcnt(0)
	s_barrier
	buffer_gl0_inv
	v_lshlrev_b32_e32 v114, 2, v114
	v_lshlrev_b32_e32 v116, 2, v116
	v_mul_f16_sdwa v29, v44, v94 dst_sel:DWORD dst_unused:UNUSED_PAD src0_sel:DWORD src1_sel:WORD_1
	v_mul_f16_sdwa v30, v10, v94 dst_sel:DWORD dst_unused:UNUSED_PAD src0_sel:DWORD src1_sel:WORD_1
	;; [unrolled: 1-line block ×21, first 2 shown]
	v_fma_f16 v10, v10, v94, -v29
	v_fmac_f16_e32 v30, v44, v94
	v_fma_f16 v11, v11, v94, -v35
	v_fmac_f16_e32 v36, v46, v94
	;; [unrolled: 2-line block ×5, first 2 shown]
	v_mul_f16_sdwa v135, v41, v94 dst_sel:DWORD dst_unused:UNUSED_PAD src0_sel:DWORD src1_sel:WORD_1
	v_fma_f16 v19, v19, v94, -v124
	v_fmac_f16_e32 v125, v54, v94
	v_fma_f16 v16, v16, v94, -v126
	v_fmac_f16_e32 v127, v56, v94
	v_fma_f16 v17, v17, v94, -v128
	v_fmac_f16_e32 v129, v58, v94
	v_fma_f16 v14, v14, v94, -v130
	v_fmac_f16_e32 v131, v60, v94
	v_fma_f16 v15, v15, v94, -v132
	v_fmac_f16_e32 v133, v62, v94
	v_fma_f16 v29, v41, v94, -v134
	v_sub_f16_e32 v10, v0, v10
	v_sub_f16_e32 v30, v43, v30
	;; [unrolled: 1-line block ×10, first 2 shown]
	v_fmac_f16_e32 v135, v42, v94
	v_sub_f16_e32 v19, v5, v19
	v_sub_f16_e32 v39, v53, v125
	;; [unrolled: 1-line block ×11, first 2 shown]
	v_fma_f16 v0, v0, 2.0, -v10
	v_fma_f16 v29, v43, 2.0, -v30
	v_fma_f16 v1, v1, 2.0, -v11
	v_fma_f16 v43, v45, 2.0, -v35
	v_fma_f16 v2, v2, 2.0, -v12
	v_fma_f16 v45, v47, 2.0, -v36
	v_fma_f16 v3, v3, 2.0, -v13
	v_fma_f16 v46, v49, 2.0, -v37
	v_fma_f16 v4, v4, 2.0, -v18
	v_fma_f16 v47, v51, 2.0, -v38
	v_sub_f16_e32 v133, v21, v135
	v_fma_f16 v5, v5, 2.0, -v19
	v_fma_f16 v48, v53, 2.0, -v39
	;; [unrolled: 1-line block ×10, first 2 shown]
	v_pack_b32_f16 v10, v10, v30
	v_pack_b32_f16 v0, v0, v29
	;; [unrolled: 1-line block ×20, first 2 shown]
	ds_write2_b32 v117, v0, v10 offset1:4
	ds_write2_b32 v118, v1, v11 offset1:4
	;; [unrolled: 1-line block ×10, first 2 shown]
	s_and_saveexec_b32 s2, vcc_lo
	s_cbranch_execz .LBB0_15
; %bb.14:
	v_fma_f16 v0, v20, 2.0, -v132
	v_and_or_b32 v1, 0x4f8, v86, v93
	v_fma_f16 v2, v21, 2.0, -v133
	v_lshlrev_b32_e32 v1, 2, v1
	v_pack_b32_f16 v0, v0, v2
	v_perm_b32 v2, v133, v132, 0x5040100
	ds_write2_b32 v1, v0, v2 offset1:4
.LBB0_15:
	s_or_b32 exec_lo, exec_lo, s2
	v_and_b32_e32 v12, 7, v81
	s_waitcnt lgkmcnt(0)
	s_barrier
	buffer_gl0_inv
	v_add_nc_u32_e32 v55, 0x400, v63
	v_lshlrev_b32_e32 v0, 3, v12
	v_lshrrev_b32_e32 v13, 3, v81
	v_lshrrev_b32_e32 v15, 3, v22
	v_and_b32_e32 v39, 0xff, v23
	v_add_nc_u32_e32 v53, 0xc00, v63
	global_load_dwordx2 v[29:30], v0, s[0:1] offset:24
	v_add_nc_u32_e32 v46, 0x800, v63
	ds_read2_b32 v[2:3], v63 offset1:56
	ds_read2_b32 v[0:1], v63 offset0:112 offset1:168
	v_add_nc_u32_e32 v45, 0x200, v63
	v_add_nc_u32_e32 v47, 0xe00, v63
	ds_read_b32 v21, v63 offset:4480
	v_lshrrev_b32_e32 v16, 3, v34
	v_lshrrev_b32_e32 v35, 3, v33
	v_lshrrev_b32_e32 v36, 3, v32
	v_lshrrev_b32_e32 v37, 3, v31
	ds_read2_b32 v[4:5], v55 offset0:80 offset1:136
	ds_read2_b32 v[6:7], v53 offset0:16 offset1:72
	;; [unrolled: 1-line block ×8, first 2 shown]
	v_mul_u32_u24_e32 v13, 24, v13
	v_mul_u32_u24_e32 v15, 24, v15
	v_mul_lo_u16 v39, 0xab, v39
	v_lshrrev_b32_e32 v14, 3, v23
	v_mul_u32_u24_e32 v16, 24, v16
	v_or_b32_e32 v13, v13, v12
	v_or_b32_e32 v42, v15, v12
	v_lshrrev_b16 v15, 12, v39
	v_mul_u32_u24_e32 v14, 24, v14
	v_or_b32_e32 v43, v16, v12
	v_lshlrev_b32_e32 v128, 2, v13
	v_lshlrev_b32_e32 v126, 2, v42
	v_mul_lo_u16 v13, v15, 24
	v_or_b32_e32 v41, v14, v12
	s_waitcnt lgkmcnt(6)
	v_lshrrev_b32_e32 v42, 16, v6
	v_lshlrev_b32_e32 v125, 2, v43
	s_waitcnt lgkmcnt(5)
	v_lshrrev_b32_e32 v43, 16, v8
	v_sub_nc_u16 v13, v23, v13
	v_lshrrev_b32_e32 v23, 16, v5
	v_lshrrev_b32_e32 v44, 16, v7
	;; [unrolled: 1-line block ×3, first 2 shown]
	s_waitcnt lgkmcnt(4)
	v_lshrrev_b32_e32 v49, 16, v10
	v_and_b32_e32 v38, 0xff, v81
	v_and_b32_e32 v40, 0xff, v22
	v_lshlrev_b32_e32 v127, 2, v41
	v_lshrrev_b32_e32 v41, 16, v21
	s_waitcnt lgkmcnt(3)
	v_lshrrev_b32_e32 v50, 16, v17
	v_lshrrev_b32_e32 v51, 16, v11
	;; [unrolled: 1-line block ×3, first 2 shown]
	s_waitcnt lgkmcnt(1)
	v_lshrrev_b32_e32 v56, 16, v31
	s_waitcnt lgkmcnt(0)
	v_lshrrev_b32_e32 v58, 16, v33
	v_lshrrev_b32_e32 v59, 16, v32
	;; [unrolled: 1-line block ×3, first 2 shown]
	v_mul_u32_u24_e32 v35, 24, v35
	v_mul_u32_u24_e32 v36, 24, v36
	;; [unrolled: 1-line block ×3, first 2 shown]
	v_mul_lo_u16 v38, 0xab, v38
	v_mul_lo_u16 v40, 0xab, v40
	v_or_b32_e32 v35, v35, v12
	v_or_b32_e32 v36, v36, v12
	;; [unrolled: 1-line block ×3, first 2 shown]
	v_lshrrev_b16 v16, 12, v38
	v_lshrrev_b16 v14, 12, v40
	v_lshrrev_b32_e32 v37, 16, v2
	v_lshrrev_b32_e32 v38, 16, v3
	;; [unrolled: 1-line block ×7, first 2 shown]
	v_lshlrev_b32_e32 v122, 2, v12
	v_mul_lo_u16 v12, v16, 24
	s_waitcnt vmcnt(0)
	s_barrier
	buffer_gl0_inv
	v_lshlrev_b32_e32 v124, 2, v35
	v_lshlrev_b32_e32 v123, 2, v36
	v_sub_nc_u16 v12, v81, v12
	v_and_b32_e32 v13, 0xff, v13
	v_and_b32_e32 v12, 0xff, v12
	v_mad_u64_u32 v[35:36], null, v12, 24, s[0:1]
	v_mul_f16_sdwa v62, v23, v29 dst_sel:DWORD dst_unused:UNUSED_PAD src0_sel:DWORD src1_sel:WORD_1
	v_mul_f16_sdwa v129, v5, v29 dst_sel:DWORD dst_unused:UNUSED_PAD src0_sel:DWORD src1_sel:WORD_1
	;; [unrolled: 1-line block ×28, first 2 shown]
	v_fma_f16 v5, v5, v29, -v62
	v_fmac_f16_e32 v129, v23, v29
	v_fma_f16 v6, v6, v30, -v130
	v_fmac_f16_e32 v131, v42, v30
	;; [unrolled: 2-line block ×14, first 2 shown]
	v_add_f16_e32 v41, v5, v6
	v_add_f16_e32 v44, v129, v131
	;; [unrolled: 1-line block ×7, first 2 shown]
	v_sub_f16_e32 v42, v129, v131
	v_add_f16_e32 v43, v37, v129
	v_sub_f16_e32 v5, v5, v6
	v_sub_f16_e32 v50, v135, v137
	v_add_f16_e32 v51, v38, v135
	v_sub_f16_e32 v59, v139, v141
	v_add_f16_e32 v61, v39, v139
	v_add_f16_e32 v130, v17, v11
	v_sub_f16_e32 v134, v143, v145
	v_add_f16_e32 v135, v40, v143
	v_add_f16_e32 v136, v143, v145
	v_add_f16_e32 v139, v18, v23
	v_add_f16_e32 v143, v147, v149
	v_add_f16_e32 v146, v31, v32
	v_add_f16_e32 v150, v151, v153
	v_add_f16_e32 v152, v33, v21
	v_sub_f16_e32 v154, v155, v157
	v_add_f16_e32 v156, v60, v155
	v_add_f16_e32 v155, v155, v157
	v_fma_f16 v2, -0.5, v41, v2
	v_fmac_f16_e32 v37, -0.5, v44
	v_add_f16_e32 v48, v3, v8
	v_sub_f16_e32 v8, v8, v7
	v_fmac_f16_e32 v3, -0.5, v49
	v_fmac_f16_e32 v38, -0.5, v54
	v_add_f16_e32 v56, v0, v9
	v_sub_f16_e32 v9, v9, v10
	v_fma_f16 v0, -0.5, v58, v0
	v_fmac_f16_e32 v39, -0.5, v62
	v_add_f16_e32 v129, v1, v17
	v_sub_f16_e32 v17, v17, v11
	v_add_f16_e32 v138, v19, v18
	v_sub_f16_e32 v140, v147, v149
	;; [unrolled: 2-line block ×6, first 2 shown]
	v_add_f16_e32 v6, v34, v6
	v_add_f16_e32 v34, v43, v131
	v_fmac_f16_e32 v1, -0.5, v130
	v_fmac_f16_e32 v40, -0.5, v136
	v_fma_f16 v19, -0.5, v139, v19
	v_fmac_f16_e32 v52, -0.5, v143
	v_fmac_f16_e32 v20, -0.5, v146
	;; [unrolled: 1-line block ×5, first 2 shown]
	v_fmamk_f16 v54, v42, 0x3aee, v2
	v_fmac_f16_e32 v2, 0xbaee, v42
	v_fmamk_f16 v42, v5, 0xbaee, v37
	v_fmac_f16_e32 v37, 0x3aee, v5
	v_add_f16_e32 v7, v48, v7
	v_add_f16_e32 v41, v51, v137
	v_fmamk_f16 v5, v50, 0x3aee, v3
	v_fmac_f16_e32 v3, 0xbaee, v50
	v_fmamk_f16 v50, v8, 0xbaee, v38
	v_fmac_f16_e32 v38, 0x3aee, v8
	v_add_f16_e32 v10, v56, v10
	v_add_f16_e32 v43, v61, v141
	v_fmamk_f16 v8, v59, 0x3aee, v0
	v_fmamk_f16 v56, v9, 0xbaee, v39
	v_add_f16_e32 v11, v129, v11
	v_add_f16_e32 v44, v135, v145
	;; [unrolled: 1-line block ×8, first 2 shown]
	v_fmac_f16_e32 v0, 0xbaee, v59
	v_fmac_f16_e32 v39, 0x3aee, v9
	v_fmamk_f16 v9, v134, 0x3aee, v1
	v_fmac_f16_e32 v1, 0xbaee, v134
	v_fmamk_f16 v58, v17, 0xbaee, v40
	;; [unrolled: 2-line block ×8, first 2 shown]
	v_fmac_f16_e32 v60, 0x3aee, v33
	v_pack_b32_f16 v6, v6, v34
	v_pack_b32_f16 v33, v54, v42
	;; [unrolled: 1-line block ×21, first 2 shown]
	ds_write2_b32 v128, v6, v33 offset1:8
	ds_write_b32 v128, v2 offset:64
	ds_write2_b32 v127, v7, v5 offset1:8
	ds_write_b32 v127, v3 offset:64
	;; [unrolled: 2-line block ×7, first 2 shown]
	v_mul_lo_u16 v2, v14, 24
	v_mad_u64_u32 v[0:1], null, v13, 24, s[0:1]
	s_waitcnt lgkmcnt(0)
	s_barrier
	v_sub_nc_u16 v2, v22, v2
	buffer_gl0_inv
	global_load_dwordx4 v[8:11], v[35:36], off offset:88
	v_mov_b32_e32 v43, 0xa8
	global_load_dwordx4 v[4:7], v[0:1], off offset:88
	v_and_b32_e32 v23, 0xff, v2
	global_load_dwordx2 v[35:36], v[35:36], off offset:104
	v_mad_u64_u32 v[50:51], null, v81, 24, s[0:1]
	v_mul_u32_u24_sdwa v52, v16, v43 dst_sel:DWORD dst_unused:UNUSED_PAD src0_sel:WORD_0 src1_sel:DWORD
	v_mad_u64_u32 v[17:18], null, v23, 24, s[0:1]
	s_clause 0x2
	global_load_dwordx2 v[33:34], v[0:1], off offset:104
	global_load_dwordx4 v[0:3], v[17:18], off offset:88
	global_load_dwordx2 v[31:32], v[17:18], off offset:104
	v_mul_u32_u24_sdwa v54, v15, v43 dst_sel:DWORD dst_unused:UNUSED_PAD src0_sel:WORD_0 src1_sel:DWORD
	v_mul_u32_u24_sdwa v14, v14, v43 dst_sel:DWORD dst_unused:UNUSED_PAD src0_sel:WORD_0 src1_sel:DWORD
	ds_read2_b32 v[15:16], v63 offset0:112 offset1:168
	ds_read2_b32 v[17:18], v55 offset0:80 offset1:136
	;; [unrolled: 1-line block ×9, first 2 shown]
	v_add_lshl_u32 v131, v52, v12, 2
	v_add_lshl_u32 v130, v54, v13, 2
	;; [unrolled: 1-line block ×3, first 2 shown]
	ds_read2_b32 v[12:13], v63 offset1:56
	ds_read_b32 v14, v63 offset:4480
	s_waitcnt vmcnt(0) lgkmcnt(0)
	s_barrier
	buffer_gl0_inv
	v_lshrrev_b32_e32 v23, 16, v16
	v_lshrrev_b32_e32 v52, 16, v17
	;; [unrolled: 1-line block ×18, first 2 shown]
	v_mul_f16_sdwa v142, v23, v8 dst_sel:DWORD dst_unused:UNUSED_PAD src0_sel:DWORD src1_sel:WORD_1
	v_mul_f16_sdwa v143, v16, v8 dst_sel:DWORD dst_unused:UNUSED_PAD src0_sel:DWORD src1_sel:WORD_1
	;; [unrolled: 1-line block ×36, first 2 shown]
	v_fma_f16 v16, v16, v8, -v142
	v_fmac_f16_e32 v143, v23, v8
	v_fma_f16 v17, v17, v9, -v144
	v_fmac_f16_e32 v145, v52, v9
	;; [unrolled: 2-line block ×18, first 2 shown]
	v_add_f16_e32 v49, v16, v38
	v_add_f16_e32 v52, v143, v153
	;; [unrolled: 1-line block ×4, first 2 shown]
	v_sub_f16_e32 v16, v16, v38
	v_sub_f16_e32 v38, v143, v153
	v_sub_f16_e32 v17, v17, v23
	v_sub_f16_e32 v23, v145, v151
	v_add_f16_e32 v57, v20, v21
	v_add_f16_e32 v58, v147, v149
	v_sub_f16_e32 v20, v21, v20
	v_sub_f16_e32 v21, v149, v147
	v_add_f16_e32 v59, v39, v40
	v_add_f16_e32 v60, v155, v165
	v_sub_f16_e32 v39, v39, v40
	v_sub_f16_e32 v40, v155, v165
	;; [unrolled: 4-line block ×4, first 2 shown]
	v_add_f16_e32 v136, v42, v14
	v_add_f16_e32 v137, v167, v177
	;; [unrolled: 1-line block ×4, first 2 shown]
	v_sub_f16_e32 v14, v42, v14
	v_sub_f16_e32 v42, v167, v177
	;; [unrolled: 1-line block ×4, first 2 shown]
	v_add_f16_e32 v140, v44, v37
	v_sub_f16_e32 v37, v37, v44
	v_sub_f16_e32 v44, v173, v171
	v_add_f16_e32 v142, v54, v49
	v_add_f16_e32 v143, v56, v52
	;; [unrolled: 1-line block ×3, first 2 shown]
	v_sub_f16_e32 v144, v54, v49
	v_sub_f16_e32 v145, v56, v52
	;; [unrolled: 1-line block ×6, first 2 shown]
	v_add_f16_e32 v146, v20, v17
	v_add_f16_e32 v147, v21, v23
	v_sub_f16_e32 v148, v20, v17
	v_sub_f16_e32 v149, v21, v23
	v_sub_f16_e32 v17, v17, v16
	v_sub_f16_e32 v23, v23, v38
	v_add_f16_e32 v150, v61, v59
	v_add_f16_e32 v151, v62, v60
	v_sub_f16_e32 v152, v61, v59
	v_sub_f16_e32 v153, v62, v60
	v_sub_f16_e32 v61, v134, v61
	v_sub_f16_e32 v62, v135, v62
	;; [unrolled: 6-line block ×3, first 2 shown]
	v_add_f16_e32 v158, v138, v136
	v_add_f16_e32 v159, v139, v137
	v_add_f16_e32 v162, v37, v19
	v_add_f16_e32 v163, v44, v48
	v_sub_f16_e32 v164, v37, v19
	v_sub_f16_e32 v165, v44, v48
	v_sub_f16_e32 v19, v19, v14
	v_sub_f16_e32 v48, v48, v42
	v_add_f16_e32 v57, v57, v142
	v_add_f16_e32 v58, v58, v143
	v_sub_f16_e32 v20, v16, v20
	v_sub_f16_e32 v21, v38, v21
	;; [unrolled: 1-line block ×12, first 2 shown]
	v_add_f16_e32 v16, v146, v16
	v_add_f16_e32 v38, v147, v38
	v_mul_f16_e32 v49, 0x3a52, v49
	v_mul_f16_e32 v52, 0x3a52, v52
	;; [unrolled: 1-line block ×8, first 2 shown]
	v_add_f16_e32 v134, v134, v150
	v_add_f16_e32 v135, v135, v151
	;; [unrolled: 1-line block ×4, first 2 shown]
	v_mul_f16_e32 v150, 0x2b26, v61
	v_mul_f16_e32 v151, 0x2b26, v62
	;; [unrolled: 1-line block ×6, first 2 shown]
	v_add_f16_e32 v140, v140, v158
	v_add_f16_e32 v141, v141, v159
	v_sub_f16_e32 v37, v14, v37
	v_sub_f16_e32 v44, v42, v44
	v_add_f16_e32 v14, v162, v14
	v_add_f16_e32 v42, v163, v42
	v_mul_f16_e32 v162, 0xb846, v164
	v_mul_f16_e32 v163, 0xb846, v165
	;; [unrolled: 1-line block ×4, first 2 shown]
	v_add_f16_e32 v166, v12, v57
	v_add_f16_sdwa v12, v12, v58 dst_sel:DWORD dst_unused:UNUSED_PAD src0_sel:WORD_1 src1_sel:DWORD
	v_mul_f16_e32 v59, 0x3a52, v59
	v_mul_f16_e32 v60, 0x3a52, v60
	v_mul_f16_e32 v136, 0x3a52, v136
	v_mul_f16_e32 v137, 0x3a52, v137
	v_mul_f16_e32 v158, 0x2b26, v138
	v_mul_f16_e32 v159, 0x2b26, v139
	v_fmamk_f16 v54, v54, 0x2b26, v49
	v_fmamk_f16 v56, v56, 0x2b26, v52
	v_fma_f16 v142, v144, 0x39e0, -v142
	v_fma_f16 v143, v145, 0x39e0, -v143
	;; [unrolled: 1-line block ×4, first 2 shown]
	v_fmamk_f16 v144, v20, 0x3574, v146
	v_fmamk_f16 v145, v21, 0x3574, v147
	v_fma_f16 v17, v17, 0x3b00, -v146
	v_fma_f16 v23, v23, 0x3b00, -v147
	;; [unrolled: 1-line block ×4, first 2 shown]
	v_add_f16_e32 v146, v13, v134
	v_add_f16_sdwa v13, v13, v135 dst_sel:DWORD dst_unused:UNUSED_PAD src0_sel:WORD_1 src1_sel:DWORD
	v_fma_f16 v147, v152, 0x39e0, -v150
	v_fma_f16 v148, v153, 0x39e0, -v151
	v_fmamk_f16 v149, v22, 0x3574, v154
	v_fmamk_f16 v150, v41, 0x3574, v155
	v_fma_f16 v18, v18, 0x3b00, -v154
	v_fma_f16 v43, v43, 0x3b00, -v155
	;; [unrolled: 1-line block ×4, first 2 shown]
	v_add_f16_e32 v151, v15, v140
	v_add_f16_sdwa v15, v15, v141 dst_sel:DWORD dst_unused:UNUSED_PAD src0_sel:WORD_1 src1_sel:DWORD
	v_fmamk_f16 v154, v37, 0x3574, v162
	v_fmamk_f16 v155, v44, 0x3574, v163
	v_fma_f16 v19, v19, 0x3b00, -v162
	v_fma_f16 v48, v48, 0x3b00, -v163
	;; [unrolled: 1-line block ×4, first 2 shown]
	v_fmamk_f16 v57, v57, 0xbcab, v166
	v_fmamk_f16 v58, v58, 0xbcab, v12
	;; [unrolled: 1-line block ×4, first 2 shown]
	v_fma_f16 v59, v152, 0xb9e0, -v59
	v_fma_f16 v60, v153, 0xb9e0, -v60
	v_fmamk_f16 v138, v138, 0x2b26, v136
	v_fmamk_f16 v139, v139, 0x2b26, v137
	v_fma_f16 v152, v160, 0x39e0, -v158
	v_fma_f16 v153, v161, 0x39e0, -v159
	;; [unrolled: 1-line block ×4, first 2 shown]
	v_fmac_f16_e32 v144, 0x370e, v16
	v_fmac_f16_e32 v145, 0x370e, v38
	;; [unrolled: 1-line block ×6, first 2 shown]
	v_fmamk_f16 v16, v134, 0xbcab, v146
	v_fmamk_f16 v38, v135, 0xbcab, v13
	v_fmac_f16_e32 v149, 0x370e, v39
	v_fmac_f16_e32 v150, 0x370e, v40
	;; [unrolled: 1-line block ×6, first 2 shown]
	v_fmamk_f16 v39, v140, 0xbcab, v151
	v_fmamk_f16 v40, v141, 0xbcab, v15
	v_fmac_f16_e32 v154, 0x370e, v14
	v_fmac_f16_e32 v155, 0x370e, v42
	;; [unrolled: 1-line block ×6, first 2 shown]
	v_pack_b32_f16 v14, v151, v15
	v_add_f16_e32 v15, v54, v57
	v_add_f16_e32 v42, v56, v58
	;; [unrolled: 1-line block ×19, first 2 shown]
	v_sub_f16_e32 v137, v42, v144
	v_add_f16_e32 v138, v21, v49
	v_sub_f16_e32 v139, v52, v20
	v_sub_f16_e32 v140, v54, v23
	v_add_f16_e32 v141, v17, v56
	v_add_f16_e32 v23, v23, v54
	v_sub_f16_e32 v17, v56, v17
	v_sub_f16_e32 v21, v49, v21
	v_add_f16_e32 v20, v20, v52
	v_sub_f16_e32 v15, v15, v145
	v_add_f16_e32 v42, v144, v42
	v_add_f16_e32 v49, v150, v57
	v_sub_f16_e32 v52, v58, v149
	v_sub_f16_e32 v142, v61, v43
	v_add_f16_e32 v143, v18, v62
	v_add_f16_e32 v43, v43, v61
	v_sub_f16_e32 v18, v62, v18
	v_add_f16_e32 v61, v44, v39
	v_sub_f16_e32 v62, v40, v37
	v_sub_f16_e32 v39, v39, v44
	v_add_f16_e32 v37, v37, v40
	v_sub_f16_e32 v40, v59, v155
	v_add_f16_e32 v44, v154, v60
	v_pack_b32_f16 v12, v166, v12
	v_add_f16_e32 v54, v41, v16
	v_sub_f16_e32 v56, v38, v22
	v_sub_f16_e32 v16, v16, v41
	v_add_f16_e32 v22, v22, v38
	v_sub_f16_e32 v38, v57, v150
	v_add_f16_e32 v41, v149, v58
	v_add_f16_e32 v57, v155, v59
	v_sub_f16_e32 v58, v60, v154
	v_sub_f16_e32 v144, v134, v48
	v_add_f16_e32 v145, v19, v135
	v_add_f16_e32 v48, v48, v134
	v_sub_f16_e32 v19, v135, v19
	v_pack_b32_f16 v59, v136, v137
	v_pack_b32_f16 v60, v138, v139
	;; [unrolled: 1-line block ×19, first 2 shown]
	ds_write2_b32 v131, v12, v59 offset1:24
	ds_write2_b32 v131, v60, v134 offset0:48 offset1:72
	ds_write2_b32 v131, v17, v20 offset0:96 offset1:120
	ds_write_b32 v131, v15 offset:576
	ds_write2_b32 v130, v13, v21 offset1:24
	ds_write2_b32 v130, v23, v42 offset0:48 offset1:72
	ds_write2_b32 v130, v18, v16 offset0:96 offset1:120
	ds_write_b32 v130, v22 offset:576
	;; [unrolled: 4-line block ×3, first 2 shown]
	v_add_co_u32 v39, s0, 0x540, v50
	s_waitcnt lgkmcnt(0)
	s_barrier
	buffer_gl0_inv
	s_clause 0x2
	global_load_dwordx4 v[16:19], v[50:51], off offset:664
	global_load_dwordx2 v[37:38], v[50:51], off offset:680
	global_load_dwordx4 v[20:23], v[50:51], off offset:2008
	v_add_co_ci_u32_e64 v40, s0, 0, v51, s0
	s_clause 0x2
	global_load_dwordx2 v[41:42], v[50:51], off offset:2024
	global_load_dwordx4 v[12:15], v[39:40], off offset:2008
	global_load_dwordx2 v[39:40], v[39:40], off offset:2024
	ds_read2_b32 v[43:44], v63 offset0:112 offset1:168
	ds_read2_b32 v[50:51], v55 offset0:80 offset1:136
	;; [unrolled: 1-line block ×9, first 2 shown]
	ds_read_b32 v52, v63 offset:4480
	ds_read2_b32 v[144:145], v63 offset1:56
	v_lshlrev_b32_e32 v48, 2, v81
	v_add_co_u32 v49, s0, s12, v48
	v_add_co_ci_u32_e64 v48, null, s13, 0, s0
	s_waitcnt lgkmcnt(10)
	v_lshrrev_b32_e32 v54, 16, v44
	s_waitcnt lgkmcnt(9)
	v_lshrrev_b32_e32 v62, 16, v50
	;; [unrolled: 2-line block ×7, first 2 shown]
	v_lshrrev_b32_e32 v151, 16, v51
	s_waitcnt lgkmcnt(3)
	v_lshrrev_b32_e32 v152, 16, v138
	v_lshrrev_b32_e32 v153, 16, v59
	s_waitcnt lgkmcnt(2)
	v_lshrrev_b32_e32 v154, 16, v140
	v_lshrrev_b32_e32 v155, 16, v135
	;; [unrolled: 1-line block ×7, first 2 shown]
	s_waitcnt lgkmcnt(1)
	v_lshrrev_b32_e32 v161, 16, v52
	v_add_co_u32 v142, s0, 0x1000, v49
	v_add_co_ci_u32_e64 v143, s0, 0, v48, s0
	s_waitcnt vmcnt(5)
	v_mul_f16_sdwa v162, v54, v16 dst_sel:DWORD dst_unused:UNUSED_PAD src0_sel:DWORD src1_sel:WORD_1
	v_mul_f16_sdwa v163, v44, v16 dst_sel:DWORD dst_unused:UNUSED_PAD src0_sel:DWORD src1_sel:WORD_1
	v_mul_f16_sdwa v164, v62, v17 dst_sel:DWORD dst_unused:UNUSED_PAD src0_sel:DWORD src1_sel:WORD_1
	v_mul_f16_sdwa v165, v50, v17 dst_sel:DWORD dst_unused:UNUSED_PAD src0_sel:DWORD src1_sel:WORD_1
	v_mul_f16_sdwa v166, v146, v18 dst_sel:DWORD dst_unused:UNUSED_PAD src0_sel:DWORD src1_sel:WORD_1
	v_mul_f16_sdwa v168, v147, v19 dst_sel:DWORD dst_unused:UNUSED_PAD src0_sel:DWORD src1_sel:WORD_1
	s_waitcnt vmcnt(4)
	v_mul_f16_sdwa v170, v148, v37 dst_sel:DWORD dst_unused:UNUSED_PAD src0_sel:DWORD src1_sel:WORD_1
	v_mul_f16_sdwa v171, v61, v37 dst_sel:DWORD dst_unused:UNUSED_PAD src0_sel:DWORD src1_sel:WORD_1
	v_mul_f16_sdwa v172, v149, v38 dst_sel:DWORD dst_unused:UNUSED_PAD src0_sel:DWORD src1_sel:WORD_1
	v_mul_f16_sdwa v173, v134, v38 dst_sel:DWORD dst_unused:UNUSED_PAD src0_sel:DWORD src1_sel:WORD_1
	v_mul_f16_sdwa v167, v57, v18 dst_sel:DWORD dst_unused:UNUSED_PAD src0_sel:DWORD src1_sel:WORD_1
	v_mul_f16_sdwa v169, v58, v19 dst_sel:DWORD dst_unused:UNUSED_PAD src0_sel:DWORD src1_sel:WORD_1
	;; [unrolled: 7-line block ×3, first 2 shown]
	v_mul_f16_sdwa v180, v153, v23 dst_sel:DWORD dst_unused:UNUSED_PAD src0_sel:DWORD src1_sel:WORD_1
	v_mul_f16_sdwa v181, v59, v23 dst_sel:DWORD dst_unused:UNUSED_PAD src0_sel:DWORD src1_sel:WORD_1
	s_waitcnt vmcnt(2)
	v_mul_f16_sdwa v182, v154, v41 dst_sel:DWORD dst_unused:UNUSED_PAD src0_sel:DWORD src1_sel:WORD_1
	v_mul_f16_sdwa v183, v140, v41 dst_sel:DWORD dst_unused:UNUSED_PAD src0_sel:DWORD src1_sel:WORD_1
	;; [unrolled: 1-line block ×4, first 2 shown]
	s_waitcnt vmcnt(1)
	v_mul_f16_sdwa v186, v156, v12 dst_sel:DWORD dst_unused:UNUSED_PAD src0_sel:DWORD src1_sel:WORD_1
	v_mul_f16_sdwa v187, v137, v12 dst_sel:DWORD dst_unused:UNUSED_PAD src0_sel:DWORD src1_sel:WORD_1
	;; [unrolled: 1-line block ×8, first 2 shown]
	s_waitcnt vmcnt(0)
	v_mul_f16_sdwa v194, v160, v39 dst_sel:DWORD dst_unused:UNUSED_PAD src0_sel:DWORD src1_sel:WORD_1
	v_mul_f16_sdwa v195, v141, v39 dst_sel:DWORD dst_unused:UNUSED_PAD src0_sel:DWORD src1_sel:WORD_1
	;; [unrolled: 1-line block ×4, first 2 shown]
	v_fma_f16 v44, v44, v16, -v162
	v_fmac_f16_e32 v163, v54, v16
	v_fma_f16 v50, v50, v17, -v164
	v_fmac_f16_e32 v165, v62, v17
	v_fma_f16 v54, v57, v18, -v166
	v_fma_f16 v57, v58, v19, -v168
	;; [unrolled: 1-line block ×3, first 2 shown]
	v_fmac_f16_e32 v171, v148, v37
	v_fma_f16 v61, v134, v38, -v172
	v_fmac_f16_e32 v173, v149, v38
	v_fmac_f16_e32 v167, v146, v18
	;; [unrolled: 1-line block ×3, first 2 shown]
	v_fma_f16 v62, v136, v20, -v174
	v_fmac_f16_e32 v175, v150, v20
	v_fma_f16 v51, v51, v21, -v176
	v_fmac_f16_e32 v177, v151, v21
	v_fma_f16 v134, v138, v22, -v178
	v_fmac_f16_e32 v179, v152, v22
	v_fma_f16 v59, v59, v23, -v180
	v_fmac_f16_e32 v181, v153, v23
	v_fma_f16 v136, v140, v41, -v182
	v_fmac_f16_e32 v183, v154, v41
	v_fma_f16 v135, v135, v42, -v184
	v_fmac_f16_e32 v185, v155, v42
	v_fma_f16 v137, v137, v12, -v186
	v_fmac_f16_e32 v187, v156, v12
	v_fma_f16 v56, v56, v13, -v188
	v_fmac_f16_e32 v189, v157, v13
	v_fma_f16 v138, v139, v14, -v190
	v_fmac_f16_e32 v191, v158, v14
	v_fma_f16 v60, v60, v15, -v192
	v_fmac_f16_e32 v193, v159, v15
	v_fma_f16 v139, v141, v39, -v194
	v_fmac_f16_e32 v195, v160, v39
	v_fma_f16 v52, v52, v40, -v196
	v_fmac_f16_e32 v197, v161, v40
	v_add_f16_e32 v140, v44, v61
	v_add_f16_e32 v141, v163, v173
	;; [unrolled: 1-line block ×4, first 2 shown]
	v_sub_f16_e32 v44, v44, v61
	v_sub_f16_e32 v61, v163, v173
	;; [unrolled: 1-line block ×4, first 2 shown]
	v_add_f16_e32 v148, v54, v57
	v_add_f16_e32 v149, v167, v169
	v_sub_f16_e32 v54, v57, v54
	v_sub_f16_e32 v57, v169, v167
	v_add_f16_e32 v150, v62, v135
	v_add_f16_e32 v151, v175, v185
	v_sub_f16_e32 v62, v62, v135
	v_sub_f16_e32 v135, v175, v185
	;; [unrolled: 4-line block ×6, first 2 shown]
	v_add_f16_e32 v160, v138, v60
	v_sub_f16_e32 v60, v60, v138
	v_sub_f16_e32 v138, v193, v191
	v_add_f16_e32 v162, v146, v140
	v_add_f16_e32 v163, v147, v141
	;; [unrolled: 1-line block ×3, first 2 shown]
	v_sub_f16_e32 v164, v146, v140
	v_sub_f16_e32 v165, v147, v141
	;; [unrolled: 1-line block ×6, first 2 shown]
	v_add_f16_e32 v166, v54, v50
	v_add_f16_e32 v167, v57, v58
	v_sub_f16_e32 v168, v54, v50
	v_sub_f16_e32 v169, v57, v58
	v_sub_f16_e32 v50, v50, v44
	v_sub_f16_e32 v58, v58, v61
	v_add_f16_e32 v170, v152, v150
	v_add_f16_e32 v171, v153, v151
	v_sub_f16_e32 v172, v152, v150
	v_sub_f16_e32 v173, v153, v151
	v_sub_f16_e32 v152, v154, v152
	v_sub_f16_e32 v153, v155, v153
	;; [unrolled: 6-line block ×3, first 2 shown]
	v_add_f16_e32 v178, v158, v156
	v_add_f16_e32 v179, v159, v157
	;; [unrolled: 1-line block ×4, first 2 shown]
	v_sub_f16_e32 v184, v60, v56
	v_sub_f16_e32 v185, v138, v139
	;; [unrolled: 1-line block ×4, first 2 shown]
	v_add_f16_e32 v148, v148, v162
	v_add_f16_e32 v149, v149, v163
	v_sub_f16_e32 v54, v44, v54
	v_sub_f16_e32 v57, v61, v57
	;; [unrolled: 1-line block ×14, first 2 shown]
	v_add_f16_e32 v44, v166, v44
	v_add_f16_e32 v61, v167, v61
	v_mul_f16_e32 v140, 0x3a52, v140
	v_mul_f16_e32 v141, 0x3a52, v141
	;; [unrolled: 1-line block ×8, first 2 shown]
	v_add_f16_e32 v154, v154, v170
	v_add_f16_e32 v155, v155, v171
	;; [unrolled: 1-line block ×4, first 2 shown]
	v_mul_f16_e32 v170, 0x2b26, v152
	v_mul_f16_e32 v171, 0x2b26, v153
	;; [unrolled: 1-line block ×6, first 2 shown]
	v_add_f16_e32 v160, v160, v178
	v_add_f16_e32 v161, v161, v179
	;; [unrolled: 1-line block ×4, first 2 shown]
	v_mul_f16_e32 v182, 0xb846, v184
	v_mul_f16_e32 v183, 0xb846, v185
	;; [unrolled: 1-line block ×4, first 2 shown]
	s_waitcnt lgkmcnt(0)
	v_add_f16_e32 v186, v144, v148
	v_add_f16_sdwa v144, v144, v149 dst_sel:DWORD dst_unused:UNUSED_PAD src0_sel:WORD_1 src1_sel:DWORD
	v_mul_f16_e32 v150, 0x3a52, v150
	v_mul_f16_e32 v151, 0x3a52, v151
	;; [unrolled: 1-line block ×6, first 2 shown]
	v_fmamk_f16 v146, v146, 0x2b26, v140
	v_fmamk_f16 v147, v147, 0x2b26, v141
	v_fma_f16 v162, v164, 0x39e0, -v162
	v_fma_f16 v163, v165, 0x39e0, -v163
	;; [unrolled: 1-line block ×4, first 2 shown]
	v_fmamk_f16 v164, v54, 0x3574, v166
	v_fmamk_f16 v165, v57, 0x3574, v167
	v_fma_f16 v50, v50, 0x3b00, -v166
	v_fma_f16 v58, v58, 0x3b00, -v167
	;; [unrolled: 1-line block ×4, first 2 shown]
	v_add_f16_e32 v166, v145, v154
	v_add_f16_sdwa v145, v145, v155 dst_sel:DWORD dst_unused:UNUSED_PAD src0_sel:WORD_1 src1_sel:DWORD
	v_fma_f16 v167, v172, 0x39e0, -v170
	v_fma_f16 v168, v173, 0x39e0, -v171
	v_fmamk_f16 v169, v59, 0x3574, v174
	v_fmamk_f16 v170, v134, 0x3574, v175
	v_fma_f16 v51, v51, 0x3b00, -v174
	v_fma_f16 v136, v136, 0x3b00, -v175
	;; [unrolled: 1-line block ×4, first 2 shown]
	v_add_f16_e32 v171, v43, v160
	v_add_f16_sdwa v43, v43, v161 dst_sel:DWORD dst_unused:UNUSED_PAD src0_sel:WORD_1 src1_sel:DWORD
	v_fmamk_f16 v174, v60, 0x3574, v182
	v_fmamk_f16 v175, v138, 0x3574, v183
	v_fma_f16 v56, v56, 0x3b00, -v182
	v_fma_f16 v139, v139, 0x3b00, -v183
	;; [unrolled: 1-line block ×4, first 2 shown]
	v_fmamk_f16 v148, v148, 0xbcab, v186
	v_fmamk_f16 v149, v149, 0xbcab, v144
	;; [unrolled: 1-line block ×4, first 2 shown]
	v_fma_f16 v150, v172, 0xb9e0, -v150
	v_fma_f16 v151, v173, 0xb9e0, -v151
	v_fmamk_f16 v158, v158, 0x2b26, v156
	v_fmamk_f16 v159, v159, 0x2b26, v157
	v_fma_f16 v172, v180, 0x39e0, -v178
	v_fma_f16 v173, v181, 0x39e0, -v179
	v_fma_f16 v156, v180, 0xb9e0, -v156
	v_fma_f16 v157, v181, 0xb9e0, -v157
	v_fmac_f16_e32 v164, 0x370e, v44
	v_fmac_f16_e32 v165, 0x370e, v61
	;; [unrolled: 1-line block ×6, first 2 shown]
	v_fmamk_f16 v44, v154, 0xbcab, v166
	v_fmamk_f16 v61, v155, 0xbcab, v145
	v_fmac_f16_e32 v169, 0x370e, v62
	v_fmac_f16_e32 v170, 0x370e, v135
	;; [unrolled: 1-line block ×6, first 2 shown]
	v_fmamk_f16 v62, v160, 0xbcab, v171
	v_fmamk_f16 v135, v161, 0xbcab, v43
	v_fmac_f16_e32 v174, 0x370e, v52
	v_fmac_f16_e32 v175, 0x370e, v137
	;; [unrolled: 1-line block ×6, first 2 shown]
	v_pack_b32_f16 v52, v186, v144
	v_pack_b32_f16 v137, v166, v145
	v_add_f16_e32 v144, v146, v148
	v_add_f16_e32 v145, v147, v149
	;; [unrolled: 1-line block ×19, first 2 shown]
	v_sub_f16_e32 v157, v145, v164
	v_add_f16_e32 v158, v57, v140
	v_sub_f16_e32 v159, v141, v54
	v_sub_f16_e32 v160, v146, v58
	v_add_f16_e32 v161, v50, v147
	v_add_f16_e32 v58, v58, v146
	v_sub_f16_e32 v50, v147, v50
	v_sub_f16_e32 v57, v140, v57
	v_add_f16_e32 v54, v54, v141
	v_sub_f16_e32 v140, v144, v165
	v_add_f16_e32 v141, v164, v145
	v_add_f16_e32 v144, v170, v148
	v_sub_f16_e32 v145, v149, v169
	v_add_f16_e32 v146, v134, v44
	v_sub_f16_e32 v147, v61, v59
	v_sub_f16_e32 v162, v152, v136
	v_add_f16_e32 v163, v51, v153
	v_add_f16_e32 v136, v136, v152
	v_sub_f16_e32 v51, v153, v51
	v_sub_f16_e32 v44, v44, v134
	v_add_f16_e32 v59, v59, v61
	v_sub_f16_e32 v61, v148, v170
	v_add_f16_e32 v148, v169, v149
	v_add_f16_e32 v149, v175, v150
	v_sub_f16_e32 v152, v151, v174
	v_add_f16_e32 v153, v138, v62
	v_sub_f16_e32 v164, v135, v60
	v_sub_f16_e32 v165, v154, v139
	v_add_f16_e32 v166, v56, v155
	v_add_f16_e32 v139, v139, v154
	v_sub_f16_e32 v56, v155, v56
	v_sub_f16_e32 v62, v62, v138
	v_add_f16_e32 v60, v60, v135
	v_sub_f16_e32 v134, v150, v175
	v_add_f16_e32 v135, v174, v151
	v_pack_b32_f16 v138, v156, v157
	v_pack_b32_f16 v150, v158, v159
	;; [unrolled: 1-line block ×19, first 2 shown]
	ds_write_b32 v63, v138 offset:672
	ds_write_b32 v63, v150 offset:1344
	;; [unrolled: 1-line block ×6, first 2 shown]
	ds_write2_b32 v63, v52, v137 offset1:56
	ds_write_b32 v63, v140 offset:1568
	ds_write_b32 v63, v141 offset:2240
	;; [unrolled: 1-line block ×6, first 2 shown]
	ds_write2_b32 v45, v58, v61 offset0:96 offset1:152
	ds_write_b32 v63, v136 offset:1792
	ds_write_b32 v63, v144 offset:2464
	;; [unrolled: 1-line block ×5, first 2 shown]
	s_waitcnt lgkmcnt(0)
	s_barrier
	buffer_gl0_inv
	global_load_dword v52, v[142:143], off offset:608
	v_add_co_u32 v43, s0, 0x1260, v49
	v_add_co_ci_u32_e64 v44, s0, 0, v48, s0
	v_add_co_u32 v50, s0, 0x1800, v49
	v_add_co_ci_u32_e64 v51, s0, 0, v48, s0
	global_load_dword v54, v[43:44], off offset:224
	v_add_co_u32 v56, s0, 0x2000, v49
	s_clause 0x6
	global_load_dword v144, v[50:51], off offset:912
	global_load_dword v145, v[50:51], off offset:1136
	global_load_dword v146, v[43:44], off offset:448
	global_load_dword v147, v[50:51], off offset:1360
	global_load_dword v148, v[43:44], off offset:672
	global_load_dword v149, v[50:51], off offset:1584
	global_load_dword v150, v[43:44], off offset:896
	v_add_co_ci_u32_e64 v57, s0, 0, v48, s0
	s_clause 0xa
	global_load_dword v151, v[50:51], off offset:1808
	global_load_dword v152, v[43:44], off offset:1120
	;; [unrolled: 1-line block ×11, first 2 shown]
	ds_read2_b32 v[48:49], v63 offset1:56
	v_add_nc_u32_e32 v162, 0xa00, v63
	s_waitcnt lgkmcnt(0)
	v_lshrrev_b32_e32 v50, 16, v48
	s_waitcnt vmcnt(19)
	v_mul_f16_sdwa v51, v50, v52 dst_sel:DWORD dst_unused:UNUSED_PAD src0_sel:DWORD src1_sel:WORD_1
	v_mul_f16_sdwa v56, v48, v52 dst_sel:DWORD dst_unused:UNUSED_PAD src0_sel:DWORD src1_sel:WORD_1
	v_fma_f16 v48, v48, v52, -v51
	v_fmac_f16_e32 v56, v50, v52
	v_lshrrev_b32_e32 v52, 16, v49
	s_waitcnt vmcnt(18)
	v_mul_f16_sdwa v136, v49, v54 dst_sel:DWORD dst_unused:UNUSED_PAD src0_sel:DWORD src1_sel:WORD_1
	v_pack_b32_f16 v48, v48, v56
	v_add_nc_u32_e32 v56, 0x1000, v63
	v_fmac_f16_e32 v136, v52, v54
	ds_write_b32 v63, v48
	v_mul_f16_sdwa v48, v52, v54 dst_sel:DWORD dst_unused:UNUSED_PAD src0_sel:DWORD src1_sel:WORD_1
	ds_read2_b32 v[50:51], v46 offset0:76 offset1:132
	ds_read2_b32 v[57:58], v63 offset0:112 offset1:168
	;; [unrolled: 1-line block ×4, first 2 shown]
	v_fma_f16 v137, v49, v54, -v48
	ds_read2_b32 v[48:49], v45 offset0:96 offset1:152
	v_add_nc_u32_e32 v52, 0x600, v63
	v_pack_b32_f16 v54, v137, v136
	ds_read2_b32 v[136:137], v55 offset0:80 offset1:136
	ds_read2_b32 v[138:139], v53 offset0:156 offset1:212
	;; [unrolled: 1-line block ×4, first 2 shown]
	s_waitcnt lgkmcnt(8)
	v_lshrrev_b32_e32 v163, 16, v50
	s_waitcnt vmcnt(17)
	v_mul_f16_sdwa v164, v50, v144 dst_sel:DWORD dst_unused:UNUSED_PAD src0_sel:DWORD src1_sel:WORD_1
	v_lshrrev_b32_e32 v165, 16, v51
	s_waitcnt vmcnt(16)
	v_mul_f16_sdwa v166, v51, v145 dst_sel:DWORD dst_unused:UNUSED_PAD src0_sel:DWORD src1_sel:WORD_1
	s_waitcnt lgkmcnt(7)
	v_lshrrev_b32_e32 v167, 16, v57
	s_waitcnt vmcnt(15)
	v_mul_f16_sdwa v168, v57, v146 dst_sel:DWORD dst_unused:UNUSED_PAD src0_sel:DWORD src1_sel:WORD_1
	s_waitcnt lgkmcnt(6)
	v_lshrrev_b32_e32 v169, 16, v59
	s_waitcnt vmcnt(14)
	v_mul_f16_sdwa v170, v59, v147 dst_sel:DWORD dst_unused:UNUSED_PAD src0_sel:DWORD src1_sel:WORD_1
	v_lshrrev_b32_e32 v171, 16, v58
	s_waitcnt vmcnt(13)
	v_mul_f16_sdwa v172, v58, v148 dst_sel:DWORD dst_unused:UNUSED_PAD src0_sel:DWORD src1_sel:WORD_1
	;; [unrolled: 3-line block ×3, first 2 shown]
	s_waitcnt lgkmcnt(4)
	v_lshrrev_b32_e32 v175, 16, v48
	s_waitcnt vmcnt(11)
	v_mul_f16_sdwa v176, v48, v150 dst_sel:DWORD dst_unused:UNUSED_PAD src0_sel:DWORD src1_sel:WORD_1
	v_lshrrev_b32_e32 v177, 16, v61
	s_waitcnt vmcnt(10)
	v_mul_f16_sdwa v178, v61, v151 dst_sel:DWORD dst_unused:UNUSED_PAD src0_sel:DWORD src1_sel:WORD_1
	;; [unrolled: 3-line block ×4, first 2 shown]
	s_waitcnt lgkmcnt(3)
	v_lshrrev_b32_e32 v183, 16, v136
	s_waitcnt vmcnt(7)
	v_mul_f16_sdwa v184, v136, v154 dst_sel:DWORD dst_unused:UNUSED_PAD src0_sel:DWORD src1_sel:WORD_1
	s_waitcnt lgkmcnt(2)
	v_lshrrev_b32_e32 v185, 16, v138
	s_waitcnt vmcnt(6)
	v_mul_f16_sdwa v186, v138, v155 dst_sel:DWORD dst_unused:UNUSED_PAD src0_sel:DWORD src1_sel:WORD_1
	v_lshrrev_b32_e32 v187, 16, v137
	s_waitcnt vmcnt(5)
	v_mul_f16_sdwa v188, v137, v156 dst_sel:DWORD dst_unused:UNUSED_PAD src0_sel:DWORD src1_sel:WORD_1
	;; [unrolled: 3-line block ×3, first 2 shown]
	s_waitcnt lgkmcnt(1)
	v_lshrrev_b32_e32 v191, 16, v140
	s_waitcnt vmcnt(3)
	v_mul_f16_sdwa v192, v140, v158 dst_sel:DWORD dst_unused:UNUSED_PAD src0_sel:DWORD src1_sel:WORD_1
	s_waitcnt lgkmcnt(0)
	v_lshrrev_b32_e32 v193, 16, v142
	s_waitcnt vmcnt(2)
	v_mul_f16_sdwa v194, v142, v159 dst_sel:DWORD dst_unused:UNUSED_PAD src0_sel:DWORD src1_sel:WORD_1
	v_lshrrev_b32_e32 v195, 16, v141
	s_waitcnt vmcnt(1)
	v_mul_f16_sdwa v196, v141, v160 dst_sel:DWORD dst_unused:UNUSED_PAD src0_sel:DWORD src1_sel:WORD_1
	v_lshrrev_b32_e32 v197, 16, v143
	v_mul_f16_sdwa v199, v163, v144 dst_sel:DWORD dst_unused:UNUSED_PAD src0_sel:DWORD src1_sel:WORD_1
	v_fmac_f16_e32 v164, v163, v144
	v_mul_f16_sdwa v163, v165, v145 dst_sel:DWORD dst_unused:UNUSED_PAD src0_sel:DWORD src1_sel:WORD_1
	v_fmac_f16_e32 v166, v165, v145
	;; [unrolled: 2-line block ×10, first 2 shown]
	v_mul_f16_sdwa v181, v183, v154 dst_sel:DWORD dst_unused:UNUSED_PAD src0_sel:DWORD src1_sel:WORD_1
	s_waitcnt vmcnt(0)
	v_mul_f16_sdwa v198, v143, v161 dst_sel:DWORD dst_unused:UNUSED_PAD src0_sel:DWORD src1_sel:WORD_1
	v_fmac_f16_e32 v184, v183, v154
	v_mul_f16_sdwa v183, v185, v155 dst_sel:DWORD dst_unused:UNUSED_PAD src0_sel:DWORD src1_sel:WORD_1
	v_fmac_f16_e32 v186, v185, v155
	;; [unrolled: 2-line block ×7, first 2 shown]
	v_mul_f16_sdwa v195, v197, v161 dst_sel:DWORD dst_unused:UNUSED_PAD src0_sel:DWORD src1_sel:WORD_1
	v_fma_f16 v57, v57, v146, -v165
	v_fma_f16 v51, v51, v145, -v163
	;; [unrolled: 1-line block ×9, first 2 shown]
	v_fmac_f16_e32 v198, v197, v161
	v_fma_f16 v50, v50, v144, -v199
	v_fma_f16 v62, v62, v153, -v179
	;; [unrolled: 1-line block ×9, first 2 shown]
	v_pack_b32_f16 v57, v57, v168
	v_pack_b32_f16 v51, v51, v166
	;; [unrolled: 1-line block ×18, first 2 shown]
	ds_write2_b32 v63, v54, v57 offset0:56 offset1:112
	ds_write2_b32 v46, v51, v59 offset0:132 offset1:188
	ds_write2_b32 v63, v58, v48 offset0:168 offset1:224
	ds_write2_b32 v162, v60, v61 offset0:116 offset1:172
	ds_write2_b32 v55, v49, v136 offset0:24 offset1:80
	ds_write2_b32 v53, v62, v138 offset0:100 offset1:156
	ds_write2_b32 v55, v137, v140 offset0:136 offset1:192
	ds_write2_b32 v47, v139, v142 offset0:84 offset1:140
	ds_write2_b32 v52, v141, v50 offset0:120 offset1:204
	ds_write_b32 v63, v143 offset:4368
	s_and_saveexec_b32 s1, vcc_lo
	s_cbranch_execz .LBB0_17
; %bb.16:
	v_add_co_u32 v47, s0, 0x800, v43
	v_add_co_ci_u32_e64 v48, s0, 0, v44, s0
	v_add_co_u32 v43, s0, 0x1000, v43
	v_add_co_ci_u32_e64 v44, s0, 0, v44, s0
	s_clause 0x1
	global_load_dword v47, v[47:48], off offset:192
	global_load_dword v43, v[43:44], off offset:496
	ds_read_b32 v44, v63 offset:2240
	ds_read_b32 v48, v63 offset:4592
	s_waitcnt lgkmcnt(1)
	v_lshrrev_b32_e32 v49, 16, v44
	s_waitcnt lgkmcnt(0)
	v_lshrrev_b32_e32 v50, 16, v48
	s_waitcnt vmcnt(1)
	v_mul_f16_sdwa v51, v49, v47 dst_sel:DWORD dst_unused:UNUSED_PAD src0_sel:DWORD src1_sel:WORD_1
	v_mul_f16_sdwa v52, v44, v47 dst_sel:DWORD dst_unused:UNUSED_PAD src0_sel:DWORD src1_sel:WORD_1
	s_waitcnt vmcnt(0)
	v_mul_f16_sdwa v54, v50, v43 dst_sel:DWORD dst_unused:UNUSED_PAD src0_sel:DWORD src1_sel:WORD_1
	v_mul_f16_sdwa v57, v48, v43 dst_sel:DWORD dst_unused:UNUSED_PAD src0_sel:DWORD src1_sel:WORD_1
	v_fma_f16 v44, v44, v47, -v51
	v_fmac_f16_e32 v52, v49, v47
	v_fma_f16 v47, v48, v43, -v54
	v_fmac_f16_e32 v57, v50, v43
	v_pack_b32_f16 v43, v44, v52
	v_pack_b32_f16 v44, v47, v57
	ds_write_b32 v63, v43 offset:2240
	ds_write_b32 v63, v44 offset:4592
.LBB0_17:
	s_or_b32 exec_lo, exec_lo, s1
	s_waitcnt lgkmcnt(0)
	s_barrier
	buffer_gl0_inv
	ds_read2_b32 v[51:52], v63 offset1:56
	ds_read2_b32 v[57:58], v46 offset0:76 offset1:132
	ds_read2_b32 v[49:50], v63 offset0:112 offset1:168
	;; [unrolled: 1-line block ×9, first 2 shown]
	v_lshlrev_b32_e32 v137, 2, v110
	v_lshlrev_b32_e32 v136, 2, v111
	s_and_saveexec_b32 s0, vcc_lo
	s_cbranch_execz .LBB0_19
; %bb.18:
	ds_read_b32 v134, v63 offset:2240
	ds_read_b32 v132, v63 offset:4592
	s_waitcnt lgkmcnt(1)
	v_lshrrev_b32_e32 v135, 16, v134
	s_waitcnt lgkmcnt(0)
	v_lshrrev_b32_e32 v133, 16, v132
.LBB0_19:
	s_or_b32 exec_lo, exec_lo, s0
	s_waitcnt lgkmcnt(8)
	v_pk_add_f16 v57, v51, v57 neg_lo:[0,1] neg_hi:[0,1]
	v_pk_add_f16 v139, v52, v58 neg_lo:[0,1] neg_hi:[0,1]
	s_waitcnt lgkmcnt(6)
	v_pk_add_f16 v59, v49, v59 neg_lo:[0,1] neg_hi:[0,1]
	v_pk_add_f16 v141, v50, v60 neg_lo:[0,1] neg_hi:[0,1]
	s_waitcnt lgkmcnt(4)
	v_pk_add_f16 v61, v47, v61 neg_lo:[0,1] neg_hi:[0,1]
	v_pk_add_f16 v62, v48, v62 neg_lo:[0,1] neg_hi:[0,1]
	v_sub_f16_e32 v132, v134, v132
	v_sub_f16_e32 v133, v135, v133
	s_waitcnt lgkmcnt(0)
	v_pk_add_f16 v144, v44, v56 neg_lo:[0,1] neg_hi:[0,1]
	v_pk_fma_f16 v56, v51, 2.0, v57 op_sel_hi:[1,0,1] neg_lo:[0,0,1] neg_hi:[0,0,1]
	v_pk_add_f16 v53, v45, v53 neg_lo:[0,1] neg_hi:[0,1]
	v_pk_fma_f16 v138, v52, 2.0, v139 op_sel_hi:[1,0,1] neg_lo:[0,0,1] neg_hi:[0,0,1]
	;; [unrolled: 2-line block ×4, first 2 shown]
	v_pk_fma_f16 v60, v47, 2.0, v61 op_sel_hi:[1,0,1] neg_lo:[0,0,1] neg_hi:[0,0,1]
	v_fma_f16 v110, v134, 2.0, -v132
	v_fma_f16 v111, v135, 2.0, -v133
	s_barrier
	buffer_gl0_inv
	ds_write_b64 v89, v[56:57]
	ds_write_b64 v90, v[138:139]
	;; [unrolled: 1-line block ×5, first 2 shown]
	v_pk_fma_f16 v61, v48, 2.0, v62 op_sel_hi:[1,0,1] neg_lo:[0,0,1] neg_hi:[0,0,1]
	v_pk_fma_f16 v52, v45, 2.0, v53 op_sel_hi:[1,0,1] neg_lo:[0,0,1] neg_hi:[0,0,1]
	;; [unrolled: 1-line block ×5, first 2 shown]
	ds_write_b64 v92, v[61:62]
	ds_write_b64 v96, v[52:53]
	;; [unrolled: 1-line block ×5, first 2 shown]
	s_and_saveexec_b32 s0, vcc_lo
	s_cbranch_execz .LBB0_21
; %bb.20:
	v_perm_b32 v44, v133, v132, 0x5040100
	v_perm_b32 v43, v111, v110, 0x5040100
	ds_write_b64 v98, v[43:44]
.LBB0_21:
	s_or_b32 exec_lo, exec_lo, s0
	v_add_nc_u32_e32 v43, 0x800, v63
	v_add_nc_u32_e32 v53, 0xc00, v63
	;; [unrolled: 1-line block ×5, first 2 shown]
	s_waitcnt lgkmcnt(0)
	s_barrier
	buffer_gl0_inv
	ds_read2_b32 v[49:50], v63 offset1:56
	ds_read2_b32 v[61:62], v43 offset0:76 offset1:132
	ds_read2_b32 v[51:52], v63 offset0:112 offset1:168
	;; [unrolled: 1-line block ×9, first 2 shown]
	s_and_saveexec_b32 s0, vcc_lo
	s_cbranch_execz .LBB0_23
; %bb.22:
	ds_read_b32 v110, v63 offset:2240
	ds_read_b32 v132, v63 offset:4592
	s_waitcnt lgkmcnt(1)
	v_lshrrev_b32_e32 v111, 16, v110
	s_waitcnt lgkmcnt(0)
	v_lshrrev_b32_e32 v133, 16, v132
.LBB0_23:
	s_or_b32 exec_lo, exec_lo, s0
	s_waitcnt lgkmcnt(8)
	v_lshrrev_b32_e32 v90, 16, v61
	v_lshrrev_b32_e32 v92, 16, v62
	s_waitcnt lgkmcnt(6)
	v_lshrrev_b32_e32 v96, 16, v59
	v_lshrrev_b32_e32 v98, 16, v60
	v_mul_f16_sdwa v145, v88, v61 dst_sel:DWORD dst_unused:UNUSED_PAD src0_sel:WORD_1 src1_sel:DWORD
	v_mul_f16_sdwa v144, v88, v90 dst_sel:DWORD dst_unused:UNUSED_PAD src0_sel:WORD_1 src1_sel:DWORD
	;; [unrolled: 1-line block ×4, first 2 shown]
	s_waitcnt lgkmcnt(4)
	v_lshrrev_b32_e32 v134, 16, v57
	s_waitcnt lgkmcnt(2)
	v_lshrrev_b32_e32 v138, 16, v55
	v_fmac_f16_e32 v144, v88, v61
	v_fma_f16 v61, v88, v90, -v145
	v_fmac_f16_e32 v146, v88, v62
	v_mul_f16_sdwa v62, v88, v96 dst_sel:DWORD dst_unused:UNUSED_PAD src0_sel:WORD_1 src1_sel:DWORD
	v_fma_f16 v90, v88, v92, -v148
	v_mul_f16_sdwa v92, v88, v59 dst_sel:DWORD dst_unused:UNUSED_PAD src0_sel:WORD_1 src1_sel:DWORD
	v_mul_f16_sdwa v145, v88, v98 dst_sel:DWORD dst_unused:UNUSED_PAD src0_sel:WORD_1 src1_sel:DWORD
	;; [unrolled: 1-line block ×3, first 2 shown]
	v_lshrrev_b32_e32 v136, 16, v58
	v_lshrrev_b32_e32 v140, 16, v56
	v_fmac_f16_e32 v62, v88, v59
	v_mul_f16_sdwa v59, v88, v134 dst_sel:DWORD dst_unused:UNUSED_PAD src0_sel:WORD_1 src1_sel:DWORD
	v_fma_f16 v92, v88, v96, -v92
	v_fmac_f16_e32 v145, v88, v60
	v_fma_f16 v60, v88, v98, -v148
	v_mul_f16_sdwa v96, v88, v57 dst_sel:DWORD dst_unused:UNUSED_PAD src0_sel:WORD_1 src1_sel:DWORD
	v_mul_f16_sdwa v148, v88, v138 dst_sel:DWORD dst_unused:UNUSED_PAD src0_sel:WORD_1 src1_sel:DWORD
	s_waitcnt lgkmcnt(0)
	v_lshrrev_b32_e32 v142, 16, v53
	v_lshrrev_b32_e32 v147, 16, v54
	v_fmac_f16_e32 v59, v88, v57
	v_mul_f16_sdwa v57, v88, v136 dst_sel:DWORD dst_unused:UNUSED_PAD src0_sel:WORD_1 src1_sel:DWORD
	v_mul_f16_sdwa v98, v88, v58 dst_sel:DWORD dst_unused:UNUSED_PAD src0_sel:WORD_1 src1_sel:DWORD
	v_fma_f16 v96, v88, v134, -v96
	v_mul_f16_sdwa v134, v88, v55 dst_sel:DWORD dst_unused:UNUSED_PAD src0_sel:WORD_1 src1_sel:DWORD
	v_fmac_f16_e32 v148, v88, v55
	v_mul_f16_sdwa v55, v88, v140 dst_sel:DWORD dst_unused:UNUSED_PAD src0_sel:WORD_1 src1_sel:DWORD
	v_fmac_f16_e32 v57, v88, v58
	v_fma_f16 v58, v88, v136, -v98
	v_fma_f16 v98, v88, v138, -v134
	v_mul_f16_sdwa v134, v88, v56 dst_sel:DWORD dst_unused:UNUSED_PAD src0_sel:WORD_1 src1_sel:DWORD
	v_mul_f16_sdwa v136, v88, v142 dst_sel:DWORD dst_unused:UNUSED_PAD src0_sel:WORD_1 src1_sel:DWORD
	;; [unrolled: 1-line block ×3, first 2 shown]
	v_fmac_f16_e32 v55, v88, v56
	v_mul_f16_sdwa v56, v88, v147 dst_sel:DWORD dst_unused:UNUSED_PAD src0_sel:WORD_1 src1_sel:DWORD
	v_lshrrev_b32_e32 v89, 16, v49
	v_lshrrev_b32_e32 v91, 16, v50
	v_fma_f16 v134, v88, v140, -v134
	v_fmac_f16_e32 v136, v88, v53
	v_fma_f16 v53, v88, v142, -v138
	v_mul_f16_sdwa v138, v88, v54 dst_sel:DWORD dst_unused:UNUSED_PAD src0_sel:WORD_1 src1_sel:DWORD
	v_fmac_f16_e32 v56, v88, v54
	v_mul_f16_sdwa v54, v88, v133 dst_sel:DWORD dst_unused:UNUSED_PAD src0_sel:WORD_1 src1_sel:DWORD
	v_mul_f16_sdwa v140, v88, v132 dst_sel:DWORD dst_unused:UNUSED_PAD src0_sel:WORD_1 src1_sel:DWORD
	v_lshrrev_b32_e32 v95, 16, v51
	v_lshrrev_b32_e32 v97, 16, v52
	;; [unrolled: 1-line block ×4, first 2 shown]
	v_sub_f16_e32 v142, v49, v144
	v_sub_f16_e32 v61, v89, v61
	v_lshrrev_b32_e32 v137, 16, v45
	v_fma_f16 v138, v88, v147, -v138
	v_fmac_f16_e32 v54, v88, v132
	v_fma_f16 v88, v88, v133, -v140
	v_sub_f16_e32 v132, v50, v146
	v_sub_f16_e32 v140, v91, v90
	v_lshrrev_b32_e32 v139, 16, v46
	v_sub_f16_e32 v62, v51, v62
	v_sub_f16_e32 v92, v95, v92
	v_lshrrev_b32_e32 v141, 16, v43
	;; [unrolled: 3-line block ×3, first 2 shown]
	v_sub_f16_e32 v59, v47, v59
	v_sub_f16_e32 v96, v99, v96
	v_fma_f16 v49, v49, 2.0, -v142
	v_fma_f16 v133, v89, 2.0, -v61
	v_sub_f16_e32 v57, v48, v57
	v_sub_f16_e32 v58, v135, v58
	v_fma_f16 v50, v50, 2.0, -v132
	v_fma_f16 v145, v91, 2.0, -v140
	v_sub_f16_e32 v146, v45, v148
	v_sub_f16_e32 v98, v137, v98
	;; [unrolled: 1-line block ×3, first 2 shown]
	v_fma_f16 v51, v51, 2.0, -v62
	v_fma_f16 v95, v95, 2.0, -v92
	v_sub_f16_e32 v55, v46, v55
	v_sub_f16_e32 v134, v139, v134
	v_fma_f16 v52, v52, 2.0, -v144
	v_fma_f16 v97, v97, 2.0, -v60
	v_sub_f16_e32 v136, v43, v136
	v_sub_f16_e32 v53, v141, v53
	;; [unrolled: 4-line block ×3, first 2 shown]
	v_fma_f16 v48, v48, 2.0, -v57
	v_fma_f16 v135, v135, 2.0, -v58
	v_sub_f16_e32 v91, v111, v88
	v_pack_b32_f16 v49, v49, v133
	v_pack_b32_f16 v61, v142, v61
	v_fma_f16 v45, v45, 2.0, -v146
	v_fma_f16 v137, v137, 2.0, -v98
	;; [unrolled: 1-line block ×3, first 2 shown]
	v_pack_b32_f16 v50, v50, v145
	v_pack_b32_f16 v110, v132, v140
	v_fma_f16 v46, v46, 2.0, -v55
	v_fma_f16 v139, v139, 2.0, -v134
	v_pack_b32_f16 v51, v51, v95
	v_pack_b32_f16 v62, v62, v92
	v_fma_f16 v43, v43, 2.0, -v136
	v_fma_f16 v54, v141, 2.0, -v53
	;; [unrolled: 4-line block ×3, first 2 shown]
	v_pack_b32_f16 v47, v47, v99
	v_pack_b32_f16 v59, v59, v96
	v_fma_f16 v90, v111, 2.0, -v91
	s_barrier
	buffer_gl0_inv
	ds_write2_b32 v105, v49, v61 offset1:2
	ds_write2_b32 v106, v50, v110 offset1:2
	ds_write2_b32 v107, v51, v62 offset1:2
	ds_write2_b32 v108, v52, v60 offset1:2
	ds_write2_b32 v109, v47, v59 offset1:2
	v_pack_b32_f16 v47, v48, v135
	v_pack_b32_f16 v48, v57, v58
	;; [unrolled: 1-line block ×10, first 2 shown]
	ds_write2_b32 v100, v47, v48 offset1:2
	ds_write2_b32 v101, v45, v49 offset1:2
	;; [unrolled: 1-line block ×5, first 2 shown]
	s_and_saveexec_b32 s0, vcc_lo
	s_cbranch_execz .LBB0_25
; %bb.24:
	v_and_or_b32 v43, 0x4fc, v86, v87
	v_perm_b32 v44, v90, v88, 0x5040100
	v_perm_b32 v45, v91, v89, 0x5040100
	v_lshlrev_b32_e32 v43, 2, v43
	ds_write2_b32 v43, v44, v45 offset1:2
.LBB0_25:
	s_or_b32 exec_lo, exec_lo, s0
	v_add_nc_u32_e32 v43, 0x800, v63
	v_add_nc_u32_e32 v53, 0xc00, v63
	;; [unrolled: 1-line block ×5, first 2 shown]
	s_waitcnt lgkmcnt(0)
	s_barrier
	buffer_gl0_inv
	ds_read2_b32 v[51:52], v63 offset1:56
	ds_read2_b32 v[61:62], v43 offset0:76 offset1:132
	ds_read2_b32 v[49:50], v63 offset0:112 offset1:168
	;; [unrolled: 1-line block ×9, first 2 shown]
	s_and_saveexec_b32 s0, vcc_lo
	s_cbranch_execz .LBB0_27
; %bb.26:
	ds_read_b32 v88, v63 offset:2240
	ds_read_b32 v89, v63 offset:4592
	s_waitcnt lgkmcnt(1)
	v_lshrrev_b32_e32 v90, 16, v88
	s_waitcnt lgkmcnt(0)
	v_lshrrev_b32_e32 v91, 16, v89
.LBB0_27:
	s_or_b32 exec_lo, exec_lo, s0
	s_waitcnt lgkmcnt(8)
	v_lshrrev_b32_e32 v92, 16, v61
	v_lshrrev_b32_e32 v96, 16, v62
	s_waitcnt lgkmcnt(6)
	v_lshrrev_b32_e32 v98, 16, v59
	v_mul_f16_sdwa v136, v94, v62 dst_sel:DWORD dst_unused:UNUSED_PAD src0_sel:WORD_1 src1_sel:DWORD
	v_lshrrev_b32_e32 v100, 16, v60
	v_mul_f16_sdwa v132, v94, v92 dst_sel:DWORD dst_unused:UNUSED_PAD src0_sel:WORD_1 src1_sel:DWORD
	v_mul_f16_sdwa v135, v94, v96 dst_sel:DWORD dst_unused:UNUSED_PAD src0_sel:WORD_1 src1_sel:DWORD
	s_waitcnt lgkmcnt(4)
	v_lshrrev_b32_e32 v102, 16, v57
	v_mul_f16_sdwa v134, v94, v61 dst_sel:DWORD dst_unused:UNUSED_PAD src0_sel:WORD_1 src1_sel:DWORD
	v_lshrrev_b32_e32 v104, 16, v58
	v_fmac_f16_e32 v132, v94, v61
	v_mul_f16_sdwa v61, v94, v98 dst_sel:DWORD dst_unused:UNUSED_PAD src0_sel:WORD_1 src1_sel:DWORD
	v_fmac_f16_e32 v135, v94, v62
	v_fma_f16 v62, v94, v96, -v136
	v_mul_f16_sdwa v96, v94, v59 dst_sel:DWORD dst_unused:UNUSED_PAD src0_sel:WORD_1 src1_sel:DWORD
	v_fma_f16 v92, v94, v92, -v134
	v_fmac_f16_e32 v61, v94, v59
	v_mul_f16_sdwa v59, v94, v100 dst_sel:DWORD dst_unused:UNUSED_PAD src0_sel:WORD_1 src1_sel:DWORD
	v_mul_f16_sdwa v134, v94, v60 dst_sel:DWORD dst_unused:UNUSED_PAD src0_sel:WORD_1 src1_sel:DWORD
	;; [unrolled: 1-line block ×3, first 2 shown]
	s_waitcnt lgkmcnt(2)
	v_lshrrev_b32_e32 v106, 16, v55
	v_fma_f16 v96, v94, v98, -v96
	v_mul_f16_sdwa v98, v94, v57 dst_sel:DWORD dst_unused:UNUSED_PAD src0_sel:WORD_1 src1_sel:DWORD
	v_lshrrev_b32_e32 v108, 16, v56
	v_fmac_f16_e32 v59, v94, v60
	v_fma_f16 v60, v94, v100, -v134
	v_fmac_f16_e32 v136, v94, v57
	v_mul_f16_sdwa v57, v94, v104 dst_sel:DWORD dst_unused:UNUSED_PAD src0_sel:WORD_1 src1_sel:DWORD
	v_mul_f16_sdwa v100, v94, v58 dst_sel:DWORD dst_unused:UNUSED_PAD src0_sel:WORD_1 src1_sel:DWORD
	s_waitcnt lgkmcnt(0)
	v_lshrrev_b32_e32 v133, 16, v54
	v_fma_f16 v98, v94, v102, -v98
	v_mul_f16_sdwa v102, v94, v106 dst_sel:DWORD dst_unused:UNUSED_PAD src0_sel:WORD_1 src1_sel:DWORD
	v_mul_f16_sdwa v134, v94, v55 dst_sel:DWORD dst_unused:UNUSED_PAD src0_sel:WORD_1 src1_sel:DWORD
	v_lshrrev_b32_e32 v110, 16, v53
	v_fmac_f16_e32 v57, v94, v58
	v_mul_f16_sdwa v58, v94, v108 dst_sel:DWORD dst_unused:UNUSED_PAD src0_sel:WORD_1 src1_sel:DWORD
	v_fma_f16 v100, v94, v104, -v100
	v_mul_f16_sdwa v104, v94, v56 dst_sel:DWORD dst_unused:UNUSED_PAD src0_sel:WORD_1 src1_sel:DWORD
	v_lshrrev_b32_e32 v87, 16, v51
	v_fmac_f16_e32 v102, v94, v55
	v_fma_f16 v55, v94, v106, -v134
	v_mul_f16_sdwa v134, v94, v133 dst_sel:DWORD dst_unused:UNUSED_PAD src0_sel:WORD_1 src1_sel:DWORD
	v_lshrrev_b32_e32 v95, 16, v52
	v_fmac_f16_e32 v58, v94, v56
	v_mul_f16_sdwa v56, v94, v110 dst_sel:DWORD dst_unused:UNUSED_PAD src0_sel:WORD_1 src1_sel:DWORD
	v_mul_f16_sdwa v106, v94, v53 dst_sel:DWORD dst_unused:UNUSED_PAD src0_sel:WORD_1 src1_sel:DWORD
	v_fma_f16 v104, v94, v108, -v104
	v_mul_f16_sdwa v108, v94, v54 dst_sel:DWORD dst_unused:UNUSED_PAD src0_sel:WORD_1 src1_sel:DWORD
	v_lshrrev_b32_e32 v97, 16, v49
	v_lshrrev_b32_e32 v99, 16, v50
	;; [unrolled: 1-line block ×4, first 2 shown]
	v_fmac_f16_e32 v134, v94, v54
	v_sub_f16_e32 v54, v51, v132
	v_sub_f16_e32 v92, v87, v92
	v_lshrrev_b32_e32 v105, 16, v47
	v_fmac_f16_e32 v56, v94, v53
	v_fma_f16 v53, v94, v110, -v106
	v_fma_f16 v106, v94, v133, -v108
	v_sub_f16_e32 v108, v52, v135
	v_sub_f16_e32 v62, v95, v62
	v_lshrrev_b32_e32 v107, 16, v48
	v_sub_f16_e32 v61, v49, v61
	v_sub_f16_e32 v96, v97, v96
	v_lshrrev_b32_e32 v109, 16, v43
	;; [unrolled: 3-line block ×3, first 2 shown]
	v_sub_f16_e32 v110, v45, v136
	v_sub_f16_e32 v98, v101, v98
	v_fma_f16 v51, v51, 2.0, -v54
	v_fma_f16 v87, v87, 2.0, -v92
	v_sub_f16_e32 v57, v46, v57
	v_sub_f16_e32 v100, v103, v100
	v_fma_f16 v52, v52, 2.0, -v108
	v_fma_f16 v95, v95, 2.0, -v62
	;; [unrolled: 4-line block ×6, first 2 shown]
	v_pack_b32_f16 v51, v51, v87
	v_pack_b32_f16 v54, v54, v92
	v_fma_f16 v47, v47, 2.0, -v102
	v_fma_f16 v105, v105, 2.0, -v55
	v_pack_b32_f16 v52, v52, v95
	v_pack_b32_f16 v62, v108, v62
	v_fma_f16 v48, v48, 2.0, -v58
	v_fma_f16 v107, v107, 2.0, -v104
	;; [unrolled: 4-line block ×4, first 2 shown]
	v_pack_b32_f16 v45, v45, v101
	v_pack_b32_f16 v60, v110, v98
	s_barrier
	buffer_gl0_inv
	ds_write2_b32 v117, v51, v54 offset1:4
	ds_write2_b32 v118, v52, v62 offset1:4
	;; [unrolled: 1-line block ×5, first 2 shown]
	v_pack_b32_f16 v45, v46, v103
	v_pack_b32_f16 v46, v57, v100
	;; [unrolled: 1-line block ×10, first 2 shown]
	ds_write2_b32 v112, v45, v46 offset1:4
	ds_write2_b32 v113, v47, v49 offset1:4
	;; [unrolled: 1-line block ×5, first 2 shown]
	s_and_saveexec_b32 s0, vcc_lo
	s_cbranch_execz .LBB0_29
; %bb.28:
	v_mul_f16_sdwa v43, v94, v91 dst_sel:DWORD dst_unused:UNUSED_PAD src0_sel:WORD_1 src1_sel:DWORD
	v_mul_f16_sdwa v44, v94, v89 dst_sel:DWORD dst_unused:UNUSED_PAD src0_sel:WORD_1 src1_sel:DWORD
	v_and_or_b32 v45, 0x4f8, v86, v93
	v_fmac_f16_e32 v43, v94, v89
	v_fma_f16 v44, v94, v91, -v44
	v_lshlrev_b32_e32 v45, 2, v45
	v_sub_f16_e32 v43, v88, v43
	v_sub_f16_e32 v44, v90, v44
	v_fma_f16 v46, v88, 2.0, -v43
	v_fma_f16 v47, v90, 2.0, -v44
	v_pack_b32_f16 v43, v43, v44
	v_pack_b32_f16 v46, v46, v47
	ds_write2_b32 v45, v46, v43 offset1:4
.LBB0_29:
	s_or_b32 exec_lo, exec_lo, s0
	v_add_nc_u32_e32 v43, 0x400, v63
	v_add_nc_u32_e32 v44, 0xc00, v63
	s_waitcnt lgkmcnt(0)
	s_barrier
	buffer_gl0_inv
	ds_read2_b32 v[48:49], v63 offset1:56
	ds_read2_b32 v[50:51], v43 offset0:80 offset1:136
	ds_read2_b32 v[52:53], v63 offset0:112 offset1:168
	;; [unrolled: 1-line block ×5, first 2 shown]
	v_add_nc_u32_e32 v46, 0x800, v63
	v_add_nc_u32_e32 v45, 0x200, v63
	;; [unrolled: 1-line block ×3, first 2 shown]
	ds_read2_b32 v[60:61], v46 offset0:48 offset1:104
	ds_read2_b32 v[86:87], v45 offset0:96 offset1:152
	;; [unrolled: 1-line block ×4, first 2 shown]
	ds_read_b32 v62, v63 offset:4480
	s_waitcnt lgkmcnt(0)
	s_barrier
	buffer_gl0_inv
	s_mov_b32 s4, 0x899406f7
	s_mov_b32 s5, 0x3f4bdd2b
	v_lshrrev_b32_e32 v92, 16, v48
	v_lshrrev_b32_e32 v95, 16, v51
	v_mul_f16_sdwa v113, v29, v51 dst_sel:DWORD dst_unused:UNUSED_PAD src0_sel:WORD_1 src1_sel:DWORD
	v_lshrrev_b32_e32 v96, 16, v54
	v_lshrrev_b32_e32 v97, 16, v56
	;; [unrolled: 1-line block ×3, first 2 shown]
	v_mul_f16_sdwa v111, v29, v95 dst_sel:DWORD dst_unused:UNUSED_PAD src0_sel:WORD_1 src1_sel:DWORD
	v_fma_f16 v95, v29, v95, -v113
	v_mul_f16_sdwa v115, v30, v96 dst_sel:DWORD dst_unused:UNUSED_PAD src0_sel:WORD_1 src1_sel:DWORD
	v_mul_f16_sdwa v113, v29, v97 dst_sel:DWORD dst_unused:UNUSED_PAD src0_sel:WORD_1 src1_sel:DWORD
	v_lshrrev_b32_e32 v99, 16, v57
	v_fmac_f16_e32 v111, v29, v51
	v_mul_f16_sdwa v51, v30, v54 dst_sel:DWORD dst_unused:UNUSED_PAD src0_sel:WORD_1 src1_sel:DWORD
	v_lshrrev_b32_e32 v100, 16, v58
	v_fmac_f16_e32 v115, v30, v54
	v_mul_f16_sdwa v54, v29, v56 dst_sel:DWORD dst_unused:UNUSED_PAD src0_sel:WORD_1 src1_sel:DWORD
	v_fmac_f16_e32 v113, v29, v56
	v_fma_f16 v51, v30, v96, -v51
	v_mul_f16_sdwa v96, v30, v98 dst_sel:DWORD dst_unused:UNUSED_PAD src0_sel:WORD_1 src1_sel:DWORD
	v_mul_f16_sdwa v56, v30, v55 dst_sel:DWORD dst_unused:UNUSED_PAD src0_sel:WORD_1 src1_sel:DWORD
	v_lshrrev_b32_e32 v102, 16, v60
	v_fma_f16 v54, v29, v97, -v54
	v_mul_f16_sdwa v97, v29, v99 dst_sel:DWORD dst_unused:UNUSED_PAD src0_sel:WORD_1 src1_sel:DWORD
	v_fmac_f16_e32 v96, v30, v55
	v_mul_f16_sdwa v55, v29, v57 dst_sel:DWORD dst_unused:UNUSED_PAD src0_sel:WORD_1 src1_sel:DWORD
	v_fma_f16 v56, v30, v98, -v56
	v_mul_f16_sdwa v98, v30, v100 dst_sel:DWORD dst_unused:UNUSED_PAD src0_sel:WORD_1 src1_sel:DWORD
	v_lshrrev_b32_e32 v103, 16, v59
	v_lshrrev_b32_e32 v105, 16, v61
	v_fmac_f16_e32 v97, v29, v57
	v_mul_f16_sdwa v57, v30, v58 dst_sel:DWORD dst_unused:UNUSED_PAD src0_sel:WORD_1 src1_sel:DWORD
	v_fma_f16 v55, v29, v99, -v55
	v_mul_f16_sdwa v99, v29, v102 dst_sel:DWORD dst_unused:UNUSED_PAD src0_sel:WORD_1 src1_sel:DWORD
	v_fmac_f16_e32 v98, v30, v58
	v_mul_f16_sdwa v58, v29, v60 dst_sel:DWORD dst_unused:UNUSED_PAD src0_sel:WORD_1 src1_sel:DWORD
	v_lshrrev_b32_e32 v106, 16, v88
	v_fma_f16 v57, v30, v100, -v57
	v_mul_f16_sdwa v100, v30, v103 dst_sel:DWORD dst_unused:UNUSED_PAD src0_sel:WORD_1 src1_sel:DWORD
	v_fmac_f16_e32 v99, v29, v60
	v_mul_f16_sdwa v60, v30, v59 dst_sel:DWORD dst_unused:UNUSED_PAD src0_sel:WORD_1 src1_sel:DWORD
	v_fma_f16 v58, v29, v102, -v58
	v_mul_f16_sdwa v102, v29, v105 dst_sel:DWORD dst_unused:UNUSED_PAD src0_sel:WORD_1 src1_sel:DWORD
	v_lshrrev_b32_e32 v108, 16, v90
	v_lshrrev_b32_e32 v109, 16, v89
	v_fmac_f16_e32 v100, v30, v59
	v_mul_f16_sdwa v59, v29, v61 dst_sel:DWORD dst_unused:UNUSED_PAD src0_sel:WORD_1 src1_sel:DWORD
	v_fma_f16 v60, v30, v103, -v60
	v_mul_f16_sdwa v103, v30, v106 dst_sel:DWORD dst_unused:UNUSED_PAD src0_sel:WORD_1 src1_sel:DWORD
	v_fmac_f16_e32 v102, v29, v61
	v_mul_f16_sdwa v61, v30, v88 dst_sel:DWORD dst_unused:UNUSED_PAD src0_sel:WORD_1 src1_sel:DWORD
	v_lshrrev_b32_e32 v112, 16, v91
	v_fma_f16 v59, v29, v105, -v59
	v_mul_f16_sdwa v105, v29, v108 dst_sel:DWORD dst_unused:UNUSED_PAD src0_sel:WORD_1 src1_sel:DWORD
	v_fmac_f16_e32 v103, v30, v88
	v_mul_f16_sdwa v88, v29, v90 dst_sel:DWORD dst_unused:UNUSED_PAD src0_sel:WORD_1 src1_sel:DWORD
	v_fma_f16 v61, v30, v106, -v61
	v_mul_f16_sdwa v106, v30, v109 dst_sel:DWORD dst_unused:UNUSED_PAD src0_sel:WORD_1 src1_sel:DWORD
	v_lshrrev_b32_e32 v114, 16, v62
	v_fmac_f16_e32 v105, v29, v90
	v_mul_f16_sdwa v90, v30, v89 dst_sel:DWORD dst_unused:UNUSED_PAD src0_sel:WORD_1 src1_sel:DWORD
	v_fma_f16 v88, v29, v108, -v88
	v_mul_f16_sdwa v108, v29, v112 dst_sel:DWORD dst_unused:UNUSED_PAD src0_sel:WORD_1 src1_sel:DWORD
	v_fmac_f16_e32 v106, v30, v89
	v_mul_f16_sdwa v89, v29, v91 dst_sel:DWORD dst_unused:UNUSED_PAD src0_sel:WORD_1 src1_sel:DWORD
	v_fma_f16 v90, v30, v109, -v90
	v_mul_f16_sdwa v109, v30, v114 dst_sel:DWORD dst_unused:UNUSED_PAD src0_sel:WORD_1 src1_sel:DWORD
	v_fmac_f16_e32 v108, v29, v91
	v_mul_f16_sdwa v91, v30, v62 dst_sel:DWORD dst_unused:UNUSED_PAD src0_sel:WORD_1 src1_sel:DWORD
	v_fma_f16 v29, v29, v112, -v89
	v_add_f16_e32 v89, v111, v115
	v_fmac_f16_e32 v109, v30, v62
	v_add_f16_e32 v62, v48, v111
	v_fma_f16 v30, v30, v114, -v91
	v_add_f16_e32 v91, v95, v51
	v_fma_f16 v48, -0.5, v89, v48
	v_sub_f16_e32 v89, v95, v51
	v_lshrrev_b32_e32 v93, 16, v49
	v_add_f16_e32 v95, v92, v95
	v_fmac_f16_e32 v92, -0.5, v91
	v_sub_f16_e32 v91, v111, v115
	v_fmamk_f16 v111, v89, 0xbaee, v48
	v_fmac_f16_e32 v48, 0x3aee, v89
	v_add_f16_e32 v89, v113, v96
	v_add_f16_e32 v51, v95, v51
	v_fmamk_f16 v95, v91, 0x3aee, v92
	v_add_f16_e32 v112, v49, v113
	v_fmac_f16_e32 v92, 0xbaee, v91
	v_add_f16_e32 v91, v54, v56
	v_fmac_f16_e32 v49, -0.5, v89
	v_sub_f16_e32 v89, v54, v56
	v_add_f16_e32 v54, v93, v54
	v_lshrrev_b32_e32 v94, 16, v52
	v_fmac_f16_e32 v93, -0.5, v91
	v_sub_f16_e32 v91, v113, v96
	v_add_f16_e32 v112, v112, v96
	v_add_f16_e32 v54, v54, v56
	;; [unrolled: 1-line block ×3, first 2 shown]
	v_fmamk_f16 v96, v89, 0xbaee, v49
	v_fmac_f16_e32 v49, 0x3aee, v89
	v_fmamk_f16 v89, v91, 0x3aee, v93
	v_add_f16_e32 v113, v52, v97
	v_fmac_f16_e32 v93, 0xbaee, v91
	v_add_f16_e32 v91, v55, v57
	v_fma_f16 v52, -0.5, v56, v52
	v_sub_f16_e32 v56, v55, v57
	v_lshrrev_b32_e32 v101, 16, v53
	v_add_f16_e32 v55, v94, v55
	v_fmac_f16_e32 v94, -0.5, v91
	v_sub_f16_e32 v91, v97, v98
	v_fmamk_f16 v97, v56, 0xbaee, v52
	v_fmac_f16_e32 v52, 0x3aee, v56
	v_add_f16_e32 v56, v99, v100
	v_add_f16_e32 v113, v113, v98
	;; [unrolled: 1-line block ×3, first 2 shown]
	v_fmamk_f16 v57, v91, 0x3aee, v94
	v_add_f16_e32 v98, v53, v99
	v_fmac_f16_e32 v94, 0xbaee, v91
	v_add_f16_e32 v91, v58, v60
	v_fmac_f16_e32 v53, -0.5, v56
	v_sub_f16_e32 v56, v58, v60
	v_add_f16_e32 v58, v101, v58
	v_lshrrev_b32_e32 v104, 16, v86
	v_fmac_f16_e32 v101, -0.5, v91
	v_sub_f16_e32 v91, v99, v100
	v_fmamk_f16 v99, v56, 0xbaee, v53
	v_fmac_f16_e32 v53, 0x3aee, v56
	v_add_f16_e32 v56, v58, v60
	v_add_f16_e32 v58, v102, v103
	;; [unrolled: 1-line block ×3, first 2 shown]
	v_fmamk_f16 v60, v91, 0x3aee, v101
	v_add_f16_e32 v100, v86, v102
	v_fmac_f16_e32 v101, 0xbaee, v91
	v_add_f16_e32 v91, v59, v61
	v_fma_f16 v58, -0.5, v58, v86
	v_sub_f16_e32 v86, v59, v61
	v_add_f16_e32 v59, v104, v59
	v_lshrrev_b32_e32 v107, 16, v87
	v_fmac_f16_e32 v104, -0.5, v91
	v_sub_f16_e32 v91, v102, v103
	v_add_f16_e32 v100, v100, v103
	v_add_f16_e32 v59, v59, v61
	;; [unrolled: 1-line block ×3, first 2 shown]
	v_fmamk_f16 v102, v86, 0xbaee, v58
	v_fmac_f16_e32 v58, 0x3aee, v86
	v_fmamk_f16 v86, v91, 0x3aee, v104
	v_add_f16_e32 v103, v87, v105
	v_fmac_f16_e32 v104, 0xbaee, v91
	v_add_f16_e32 v91, v88, v90
	v_fmac_f16_e32 v87, -0.5, v61
	v_sub_f16_e32 v61, v88, v90
	v_add_f16_e32 v88, v107, v88
	v_add_f16_e32 v62, v62, v115
	v_fmac_f16_e32 v107, -0.5, v91
	v_sub_f16_e32 v91, v105, v106
	v_fmamk_f16 v105, v61, 0xbaee, v87
	v_fmac_f16_e32 v87, 0x3aee, v61
	v_add_f16_e32 v61, v88, v90
	v_add_f16_e32 v88, v108, v109
	v_lshrrev_b32_e32 v110, 16, v50
	v_add_f16_e32 v103, v103, v106
	v_fmamk_f16 v90, v91, 0x3aee, v107
	v_fmac_f16_e32 v107, 0xbaee, v91
	v_add_f16_e32 v91, v29, v30
	v_add_f16_e32 v106, v50, v108
	v_fmac_f16_e32 v50, -0.5, v88
	v_sub_f16_e32 v88, v29, v30
	v_pack_b32_f16 v51, v62, v51
	v_pack_b32_f16 v62, v111, v95
	;; [unrolled: 1-line block ×3, first 2 shown]
	v_add_f16_e32 v29, v110, v29
	v_fmac_f16_e32 v110, -0.5, v91
	v_sub_f16_e32 v91, v108, v109
	v_fmamk_f16 v108, v88, 0xbaee, v50
	v_fmac_f16_e32 v50, 0x3aee, v88
	v_pack_b32_f16 v54, v112, v54
	v_pack_b32_f16 v88, v96, v89
	;; [unrolled: 1-line block ×3, first 2 shown]
	ds_write2_b32 v128, v51, v62 offset1:8
	ds_write_b32 v128, v48 offset:64
	ds_write2_b32 v127, v54, v88 offset1:8
	ds_write_b32 v127, v49 offset:64
	v_pack_b32_f16 v48, v113, v55
	v_pack_b32_f16 v49, v97, v57
	;; [unrolled: 1-line block ×5, first 2 shown]
	v_add_f16_e32 v106, v106, v109
	v_add_f16_e32 v29, v29, v30
	v_fmamk_f16 v30, v91, 0x3aee, v110
	v_pack_b32_f16 v53, v53, v101
	v_fmac_f16_e32 v110, 0xbaee, v91
	v_pack_b32_f16 v55, v100, v59
	v_pack_b32_f16 v56, v102, v86
	ds_write2_b32 v126, v48, v49 offset1:8
	ds_write_b32 v126, v51 offset:64
	ds_write2_b32 v125, v52, v54 offset1:8
	ds_write_b32 v125, v53 offset:64
	ds_write2_b32 v124, v55, v56 offset1:8
	v_pack_b32_f16 v48, v58, v104
	v_pack_b32_f16 v49, v103, v61
	;; [unrolled: 1-line block ×7, first 2 shown]
	ds_write_b32 v124, v48 offset:64
	ds_write2_b32 v123, v49, v51 offset1:8
	ds_write_b32 v123, v52 offset:64
	ds_write2_b32 v122, v29, v30 offset1:8
	ds_write_b32 v122, v50 offset:64
	s_waitcnt lgkmcnt(0)
	s_barrier
	buffer_gl0_inv
	ds_read2_b32 v[29:30], v63 offset0:112 offset1:168
	ds_read2_b32 v[48:49], v43 offset0:80 offset1:136
	;; [unrolled: 1-line block ×9, first 2 shown]
	ds_read_b32 v62, v63 offset:4480
	ds_read2_b32 v[88:89], v63 offset1:56
	s_waitcnt lgkmcnt(0)
	s_barrier
	buffer_gl0_inv
	v_lshrrev_b32_e32 v90, 16, v30
	v_lshrrev_b32_e32 v91, 16, v48
	;; [unrolled: 1-line block ×5, first 2 shown]
	v_mul_f16_sdwa v104, v8, v90 dst_sel:DWORD dst_unused:UNUSED_PAD src0_sel:WORD_1 src1_sel:DWORD
	v_lshrrev_b32_e32 v95, 16, v56
	v_mul_f16_sdwa v109, v9, v91 dst_sel:DWORD dst_unused:UNUSED_PAD src0_sel:WORD_1 src1_sel:DWORD
	v_mul_f16_sdwa v110, v9, v48 dst_sel:DWORD dst_unused:UNUSED_PAD src0_sel:WORD_1 src1_sel:DWORD
	;; [unrolled: 1-line block ×3, first 2 shown]
	v_fmac_f16_e32 v104, v8, v30
	v_mul_f16_sdwa v30, v8, v30 dst_sel:DWORD dst_unused:UNUSED_PAD src0_sel:WORD_1 src1_sel:DWORD
	v_lshrrev_b32_e32 v96, 16, v58
	v_lshrrev_b32_e32 v97, 16, v49
	v_mul_f16_sdwa v112, v10, v51 dst_sel:DWORD dst_unused:UNUSED_PAD src0_sel:WORD_1 src1_sel:DWORD
	v_fmac_f16_e32 v109, v9, v48
	v_fma_f16 v8, v8, v90, -v30
	v_fma_f16 v9, v9, v91, -v110
	v_fmac_f16_e32 v111, v10, v51
	v_mul_f16_sdwa v30, v11, v93 dst_sel:DWORD dst_unused:UNUSED_PAD src0_sel:WORD_1 src1_sel:DWORD
	v_mul_f16_sdwa v48, v11, v52 dst_sel:DWORD dst_unused:UNUSED_PAD src0_sel:WORD_1 src1_sel:DWORD
	;; [unrolled: 1-line block ×5, first 2 shown]
	v_lshrrev_b32_e32 v98, 16, v60
	v_lshrrev_b32_e32 v99, 16, v53
	;; [unrolled: 1-line block ×3, first 2 shown]
	v_fmac_f16_e32 v30, v11, v52
	v_fma_f16 v11, v11, v93, -v48
	v_fmac_f16_e32 v51, v35, v55
	v_fma_f16 v35, v35, v94, -v90
	v_fmac_f16_e32 v91, v36, v56
	v_mul_f16_sdwa v48, v36, v56 dst_sel:DWORD dst_unused:UNUSED_PAD src0_sel:WORD_1 src1_sel:DWORD
	v_mul_f16_sdwa v52, v4, v96 dst_sel:DWORD dst_unused:UNUSED_PAD src0_sel:WORD_1 src1_sel:DWORD
	;; [unrolled: 1-line block ×5, first 2 shown]
	v_lshrrev_b32_e32 v101, 16, v57
	v_lshrrev_b32_e32 v102, 16, v59
	v_fma_f16 v36, v36, v95, -v48
	v_fmac_f16_e32 v52, v4, v58
	v_fma_f16 v4, v4, v96, -v55
	v_fmac_f16_e32 v56, v5, v49
	v_fma_f16 v5, v5, v97, -v90
	v_mul_f16_sdwa v48, v6, v98 dst_sel:DWORD dst_unused:UNUSED_PAD src0_sel:WORD_1 src1_sel:DWORD
	v_mul_f16_sdwa v49, v6, v60 dst_sel:DWORD dst_unused:UNUSED_PAD src0_sel:WORD_1 src1_sel:DWORD
	;; [unrolled: 1-line block ×5, first 2 shown]
	v_lshrrev_b32_e32 v103, 16, v50
	v_lshrrev_b32_e32 v105, 16, v61
	;; [unrolled: 1-line block ×3, first 2 shown]
	v_fmac_f16_e32 v48, v6, v60
	v_fma_f16 v6, v6, v98, -v49
	v_fmac_f16_e32 v55, v7, v53
	v_fma_f16 v7, v7, v99, -v58
	v_fmac_f16_e32 v90, v33, v86
	v_mul_f16_sdwa v49, v33, v86 dst_sel:DWORD dst_unused:UNUSED_PAD src0_sel:WORD_1 src1_sel:DWORD
	v_mul_f16_sdwa v53, v34, v101 dst_sel:DWORD dst_unused:UNUSED_PAD src0_sel:WORD_1 src1_sel:DWORD
	;; [unrolled: 1-line block ×5, first 2 shown]
	v_lshrrev_b32_e32 v107, 16, v87
	v_lshrrev_b32_e32 v108, 16, v62
	v_fma_f16 v33, v33, v100, -v49
	v_fmac_f16_e32 v53, v34, v57
	v_fma_f16 v34, v34, v101, -v58
	v_fmac_f16_e32 v60, v0, v59
	v_fma_f16 v0, v0, v102, -v86
	v_mul_f16_sdwa v49, v1, v103 dst_sel:DWORD dst_unused:UNUSED_PAD src0_sel:WORD_1 src1_sel:DWORD
	v_mul_f16_sdwa v57, v1, v50 dst_sel:DWORD dst_unused:UNUSED_PAD src0_sel:WORD_1 src1_sel:DWORD
	;; [unrolled: 1-line block ×5, first 2 shown]
	v_fmac_f16_e32 v49, v1, v50
	v_fma_f16 v1, v1, v103, -v57
	v_fmac_f16_e32 v58, v2, v61
	v_fma_f16 v2, v2, v105, -v59
	v_fmac_f16_e32 v86, v3, v54
	v_mul_f16_sdwa v50, v3, v54 dst_sel:DWORD dst_unused:UNUSED_PAD src0_sel:WORD_1 src1_sel:DWORD
	v_mul_f16_sdwa v54, v31, v107 dst_sel:DWORD dst_unused:UNUSED_PAD src0_sel:WORD_1 src1_sel:DWORD
	;; [unrolled: 1-line block ×4, first 2 shown]
	v_fma_f16 v10, v10, v92, -v112
	v_mul_f16_sdwa v61, v32, v62 dst_sel:DWORD dst_unused:UNUSED_PAD src0_sel:WORD_1 src1_sel:DWORD
	v_fma_f16 v3, v3, v106, -v50
	v_fmac_f16_e32 v54, v31, v87
	v_fma_f16 v31, v31, v107, -v57
	v_fmac_f16_e32 v59, v32, v62
	v_add_f16_e32 v50, v104, v91
	v_add_f16_e32 v57, v8, v36
	v_sub_f16_e32 v8, v8, v36
	v_add_f16_e32 v36, v109, v51
	v_add_f16_e32 v62, v9, v35
	v_fma_f16 v32, v32, v108, -v61
	v_sub_f16_e32 v61, v104, v91
	v_sub_f16_e32 v51, v109, v51
	;; [unrolled: 1-line block ×3, first 2 shown]
	v_add_f16_e32 v35, v111, v30
	v_add_f16_e32 v87, v10, v11
	v_sub_f16_e32 v30, v30, v111
	v_sub_f16_e32 v10, v11, v10
	v_add_f16_e32 v11, v36, v50
	v_add_f16_e32 v91, v62, v57
	v_sub_f16_e32 v92, v36, v50
	v_sub_f16_e32 v93, v62, v57
	;; [unrolled: 1-line block ×6, first 2 shown]
	v_add_f16_e32 v94, v30, v51
	v_add_f16_e32 v95, v10, v9
	v_sub_f16_e32 v96, v30, v51
	v_sub_f16_e32 v97, v10, v9
	;; [unrolled: 1-line block ×3, first 2 shown]
	v_add_f16_e32 v11, v35, v11
	v_add_f16_e32 v35, v87, v91
	v_sub_f16_e32 v9, v9, v8
	v_sub_f16_e32 v30, v61, v30
	;; [unrolled: 1-line block ×3, first 2 shown]
	v_add_f16_e32 v61, v94, v61
	v_add_f16_e32 v8, v95, v8
	;; [unrolled: 1-line block ×3, first 2 shown]
	v_add_f16_sdwa v88, v88, v35 dst_sel:DWORD dst_unused:UNUSED_PAD src0_sel:WORD_1 src1_sel:DWORD
	v_mul_f16_e32 v50, 0x3a52, v50
	v_mul_f16_e32 v57, 0x3a52, v57
	;; [unrolled: 1-line block ×8, first 2 shown]
	v_fmamk_f16 v11, v11, 0xbcab, v87
	v_fmamk_f16 v35, v35, 0xbcab, v88
	;; [unrolled: 1-line block ×4, first 2 shown]
	v_fma_f16 v91, v92, 0x39e0, -v91
	v_fma_f16 v94, v93, 0x39e0, -v94
	;; [unrolled: 1-line block ×4, first 2 shown]
	v_fmamk_f16 v92, v30, 0xb574, v95
	v_fmamk_f16 v93, v10, 0xb574, v96
	v_fma_f16 v30, v30, 0x3574, -v97
	v_fma_f16 v10, v10, 0x3574, -v98
	;; [unrolled: 1-line block ×4, first 2 shown]
	v_add_f16_e32 v36, v36, v11
	v_add_f16_e32 v62, v62, v35
	;; [unrolled: 1-line block ×6, first 2 shown]
	v_fmac_f16_e32 v92, 0xb70e, v61
	v_fmac_f16_e32 v93, 0xb70e, v8
	;; [unrolled: 1-line block ×6, first 2 shown]
	v_add_f16_e32 v8, v93, v36
	v_sub_f16_e32 v50, v62, v92
	v_add_f16_e32 v57, v10, v11
	v_sub_f16_e32 v61, v35, v30
	v_sub_f16_e32 v10, v11, v10
	v_add_f16_e32 v11, v30, v35
	v_sub_f16_e32 v30, v36, v93
	v_add_f16_e32 v35, v92, v62
	v_add_f16_e32 v36, v52, v53
	;; [unrolled: 1-line block ×3, first 2 shown]
	v_sub_f16_e32 v52, v52, v53
	v_sub_f16_e32 v4, v4, v34
	v_add_f16_e32 v34, v56, v90
	v_add_f16_e32 v53, v5, v33
	v_sub_f16_e32 v56, v56, v90
	v_sub_f16_e32 v5, v5, v33
	v_add_f16_e32 v33, v48, v55
	v_add_f16_e32 v90, v6, v7
	;; [unrolled: 4-line block ×3, first 2 shown]
	v_sub_f16_e32 v95, v91, v9
	v_add_f16_e32 v96, v51, v94
	v_add_f16_e32 v9, v9, v91
	v_sub_f16_e32 v51, v94, v51
	v_sub_f16_e32 v91, v34, v36
	;; [unrolled: 1-line block ×7, first 2 shown]
	v_add_f16_e32 v93, v48, v56
	v_add_f16_e32 v94, v6, v5
	v_sub_f16_e32 v97, v48, v56
	v_sub_f16_e32 v98, v6, v5
	;; [unrolled: 1-line block ×3, first 2 shown]
	v_add_f16_e32 v7, v33, v7
	v_add_f16_e32 v33, v90, v55
	v_sub_f16_e32 v5, v5, v4
	v_sub_f16_e32 v48, v52, v48
	;; [unrolled: 1-line block ×3, first 2 shown]
	v_add_f16_e32 v52, v93, v52
	v_add_f16_e32 v4, v94, v4
	;; [unrolled: 1-line block ×3, first 2 shown]
	v_add_f16_sdwa v89, v89, v33 dst_sel:DWORD dst_unused:UNUSED_PAD src0_sel:WORD_1 src1_sel:DWORD
	v_mul_f16_e32 v36, 0x3a52, v36
	v_mul_f16_e32 v62, 0x3a52, v62
	;; [unrolled: 1-line block ×8, first 2 shown]
	v_fmamk_f16 v7, v7, 0xbcab, v55
	v_fmamk_f16 v33, v33, 0xbcab, v89
	;; [unrolled: 1-line block ×4, first 2 shown]
	v_fma_f16 v90, v91, 0x39e0, -v90
	v_fma_f16 v93, v92, 0x39e0, -v93
	;; [unrolled: 1-line block ×4, first 2 shown]
	v_fmamk_f16 v91, v48, 0xb574, v94
	v_fmamk_f16 v92, v6, 0xb574, v97
	v_fma_f16 v48, v48, 0x3574, -v98
	v_fma_f16 v6, v6, 0x3574, -v99
	;; [unrolled: 1-line block ×4, first 2 shown]
	v_add_f16_e32 v34, v34, v7
	v_add_f16_e32 v53, v53, v33
	;; [unrolled: 1-line block ×6, first 2 shown]
	v_fmac_f16_e32 v91, 0xb70e, v52
	v_fmac_f16_e32 v92, 0xb70e, v4
	;; [unrolled: 1-line block ×6, first 2 shown]
	v_add_f16_e32 v4, v92, v34
	v_sub_f16_e32 v36, v53, v91
	v_add_f16_e32 v52, v6, v7
	v_sub_f16_e32 v62, v33, v48
	v_sub_f16_e32 v6, v7, v6
	v_add_f16_e32 v7, v48, v33
	v_sub_f16_e32 v33, v34, v92
	v_add_f16_e32 v34, v91, v53
	v_add_f16_e32 v48, v60, v59
	;; [unrolled: 1-line block ×3, first 2 shown]
	v_sub_f16_e32 v59, v60, v59
	v_sub_f16_e32 v0, v0, v32
	v_add_f16_e32 v32, v49, v54
	v_add_f16_e32 v60, v1, v31
	v_sub_f16_e32 v49, v49, v54
	v_sub_f16_e32 v1, v1, v31
	v_add_f16_e32 v31, v58, v86
	v_add_f16_e32 v54, v2, v3
	;; [unrolled: 4-line block ×3, first 2 shown]
	v_sub_f16_e32 v94, v90, v5
	v_add_f16_e32 v97, v56, v93
	v_add_f16_e32 v5, v5, v90
	v_sub_f16_e32 v56, v93, v56
	v_sub_f16_e32 v90, v32, v48
	;; [unrolled: 1-line block ×7, first 2 shown]
	v_add_f16_e32 v92, v58, v49
	v_add_f16_e32 v93, v2, v1
	v_sub_f16_e32 v98, v58, v49
	v_sub_f16_e32 v99, v2, v1
	;; [unrolled: 1-line block ×3, first 2 shown]
	v_add_f16_e32 v3, v31, v3
	v_add_f16_e32 v31, v54, v86
	v_sub_f16_e32 v1, v1, v0
	v_sub_f16_e32 v58, v59, v58
	;; [unrolled: 1-line block ×3, first 2 shown]
	v_add_f16_e32 v54, v92, v59
	v_add_f16_e32 v0, v93, v0
	;; [unrolled: 1-line block ×3, first 2 shown]
	v_add_f16_sdwa v29, v29, v31 dst_sel:DWORD dst_unused:UNUSED_PAD src0_sel:WORD_1 src1_sel:DWORD
	v_mul_f16_e32 v48, 0x3a52, v48
	v_mul_f16_e32 v53, 0x3a52, v53
	;; [unrolled: 1-line block ×8, first 2 shown]
	v_fmamk_f16 v3, v3, 0xbcab, v59
	v_fmamk_f16 v31, v31, 0xbcab, v29
	;; [unrolled: 1-line block ×4, first 2 shown]
	v_fma_f16 v86, v90, 0x39e0, -v86
	v_fma_f16 v92, v91, 0x39e0, -v92
	;; [unrolled: 1-line block ×4, first 2 shown]
	v_fmamk_f16 v90, v58, 0xb574, v93
	v_fmamk_f16 v91, v2, 0xb574, v98
	v_fma_f16 v58, v58, 0x3574, -v99
	v_fma_f16 v2, v2, 0x3574, -v100
	;; [unrolled: 1-line block ×3, first 2 shown]
	v_add_f16_e32 v32, v32, v3
	v_add_f16_e32 v60, v60, v31
	;; [unrolled: 1-line block ×6, first 2 shown]
	v_fmac_f16_e32 v2, 0xb70e, v0
	v_fmac_f16_e32 v58, 0xb70e, v54
	v_fma_f16 v1, v1, 0xbb00, -v98
	v_fmac_f16_e32 v90, 0xb70e, v54
	v_fmac_f16_e32 v49, 0xb70e, v54
	v_add_f16_e32 v53, v2, v3
	v_sub_f16_e32 v54, v31, v58
	v_sub_f16_e32 v2, v3, v2
	v_add_f16_e32 v3, v58, v31
	v_pack_b32_f16 v58, v87, v88
	v_pack_b32_f16 v8, v8, v50
	v_fmac_f16_e32 v91, 0xb70e, v0
	v_pack_b32_f16 v50, v57, v61
	v_pack_b32_f16 v57, v95, v96
	v_fmac_f16_e32 v1, 0xb70e, v0
	ds_write2_b32 v131, v58, v8 offset1:24
	ds_write2_b32 v131, v50, v57 offset0:48 offset1:72
	v_pack_b32_f16 v8, v9, v51
	v_pack_b32_f16 v9, v10, v11
	v_add_f16_e32 v0, v91, v32
	v_sub_f16_e32 v48, v60, v90
	v_pack_b32_f16 v10, v30, v35
	v_sub_f16_e32 v93, v86, v1
	v_add_f16_e32 v98, v49, v92
	v_pack_b32_f16 v11, v55, v89
	v_pack_b32_f16 v4, v4, v36
	v_add_f16_e32 v1, v1, v86
	v_sub_f16_e32 v49, v92, v49
	v_pack_b32_f16 v30, v52, v62
	v_pack_b32_f16 v35, v94, v97
	v_sub_f16_e32 v31, v32, v91
	v_add_f16_e32 v32, v90, v60
	v_pack_b32_f16 v5, v5, v56
	v_pack_b32_f16 v6, v6, v7
	ds_write2_b32 v131, v8, v9 offset0:96 offset1:120
	ds_write_b32 v131, v10 offset:576
	ds_write2_b32 v130, v11, v4 offset1:24
	ds_write2_b32 v130, v30, v35 offset0:48 offset1:72
	ds_write2_b32 v130, v5, v6 offset0:96 offset1:120
	v_pack_b32_f16 v4, v33, v34
	v_pack_b32_f16 v5, v59, v29
	;; [unrolled: 1-line block ×8, first 2 shown]
	ds_write_b32 v130, v4 offset:576
	ds_write2_b32 v129, v5, v0 offset1:24
	ds_write2_b32 v129, v6, v7 offset0:48 offset1:72
	ds_write2_b32 v129, v1, v2 offset0:96 offset1:120
	ds_write_b32 v129, v3 offset:576
	s_waitcnt lgkmcnt(0)
	s_barrier
	buffer_gl0_inv
	ds_read2_b32 v[0:1], v63 offset0:112 offset1:168
	ds_read2_b32 v[2:3], v43 offset0:80 offset1:136
	ds_read2_b32 v[4:5], v43 offset0:192 offset1:248
	ds_read2_b32 v[6:7], v46 offset0:160 offset1:216
	ds_read2_b32 v[8:9], v44 offset0:16 offset1:72
	ds_read2_b32 v[10:11], v47 offset0:112 offset1:168
	ds_read2_b32 v[29:30], v45 offset0:96 offset1:152
	ds_read2_b32 v[31:32], v46 offset0:48 offset1:104
	ds_read2_b32 v[33:34], v44 offset0:128 offset1:184
	ds_read_b32 v47, v63 offset:4480
	ds_read2_b32 v[35:36], v63 offset1:56
	s_waitcnt lgkmcnt(10)
	v_lshrrev_b32_e32 v48, 16, v1
	s_waitcnt lgkmcnt(9)
	v_lshrrev_b32_e32 v49, 16, v2
	;; [unrolled: 2-line block ×5, first 2 shown]
	v_mul_f16_sdwa v62, v16, v48 dst_sel:DWORD dst_unused:UNUSED_PAD src0_sel:WORD_1 src1_sel:DWORD
	s_waitcnt lgkmcnt(5)
	v_lshrrev_b32_e32 v53, 16, v10
	v_mul_f16_sdwa v90, v17, v49 dst_sel:DWORD dst_unused:UNUSED_PAD src0_sel:WORD_1 src1_sel:DWORD
	v_mul_f16_sdwa v91, v17, v2 dst_sel:DWORD dst_unused:UNUSED_PAD src0_sel:WORD_1 src1_sel:DWORD
	;; [unrolled: 1-line block ×3, first 2 shown]
	v_fmac_f16_e32 v62, v16, v1
	v_mul_f16_sdwa v1, v16, v1 dst_sel:DWORD dst_unused:UNUSED_PAD src0_sel:WORD_1 src1_sel:DWORD
	v_mul_f16_sdwa v93, v18, v5 dst_sel:DWORD dst_unused:UNUSED_PAD src0_sel:WORD_1 src1_sel:DWORD
	s_waitcnt lgkmcnt(4)
	v_lshrrev_b32_e32 v54, 16, v29
	v_lshrrev_b32_e32 v55, 16, v3
	v_fmac_f16_e32 v90, v17, v2
	v_fma_f16 v1, v16, v48, -v1
	v_fma_f16 v2, v17, v49, -v91
	v_fmac_f16_e32 v92, v18, v5
	v_fma_f16 v5, v18, v50, -v93
	v_mul_f16_sdwa v16, v19, v51 dst_sel:DWORD dst_unused:UNUSED_PAD src0_sel:WORD_1 src1_sel:DWORD
	v_mul_f16_sdwa v17, v19, v6 dst_sel:DWORD dst_unused:UNUSED_PAD src0_sel:WORD_1 src1_sel:DWORD
	;; [unrolled: 1-line block ×5, first 2 shown]
	s_waitcnt lgkmcnt(3)
	v_lshrrev_b32_e32 v56, 16, v31
	v_lshrrev_b32_e32 v57, 16, v7
	s_waitcnt lgkmcnt(2)
	v_lshrrev_b32_e32 v58, 16, v33
	v_fmac_f16_e32 v16, v19, v6
	v_fma_f16 v6, v19, v51, -v17
	v_fmac_f16_e32 v18, v37, v9
	v_fma_f16 v9, v37, v52, -v48
	v_fmac_f16_e32 v49, v38, v10
	v_mul_f16_sdwa v10, v38, v10 dst_sel:DWORD dst_unused:UNUSED_PAD src0_sel:WORD_1 src1_sel:DWORD
	v_mul_f16_sdwa v17, v20, v54 dst_sel:DWORD dst_unused:UNUSED_PAD src0_sel:WORD_1 src1_sel:DWORD
	v_mul_f16_sdwa v19, v20, v29 dst_sel:DWORD dst_unused:UNUSED_PAD src0_sel:WORD_1 src1_sel:DWORD
	v_mul_f16_sdwa v37, v21, v55 dst_sel:DWORD dst_unused:UNUSED_PAD src0_sel:WORD_1 src1_sel:DWORD
	v_mul_f16_sdwa v48, v21, v3 dst_sel:DWORD dst_unused:UNUSED_PAD src0_sel:WORD_1 src1_sel:DWORD
	v_lshrrev_b32_e32 v59, 16, v11
	v_lshrrev_b32_e32 v60, 16, v30
	v_fma_f16 v10, v38, v53, -v10
	v_fmac_f16_e32 v17, v20, v29
	v_fma_f16 v19, v20, v54, -v19
	v_fmac_f16_e32 v37, v21, v3
	v_fma_f16 v3, v21, v55, -v48
	v_mul_f16_sdwa v20, v22, v56 dst_sel:DWORD dst_unused:UNUSED_PAD src0_sel:WORD_1 src1_sel:DWORD
	v_mul_f16_sdwa v21, v22, v31 dst_sel:DWORD dst_unused:UNUSED_PAD src0_sel:WORD_1 src1_sel:DWORD
	;; [unrolled: 1-line block ×5, first 2 shown]
	v_lshrrev_b32_e32 v61, 16, v4
	v_lshrrev_b32_e32 v86, 16, v32
	;; [unrolled: 1-line block ×3, first 2 shown]
	v_fmac_f16_e32 v20, v22, v31
	v_fma_f16 v21, v22, v56, -v21
	v_fmac_f16_e32 v29, v23, v7
	v_fma_f16 v7, v23, v57, -v38
	v_fmac_f16_e32 v48, v41, v33
	v_mul_f16_sdwa v22, v41, v33 dst_sel:DWORD dst_unused:UNUSED_PAD src0_sel:WORD_1 src1_sel:DWORD
	v_mul_f16_sdwa v23, v42, v59 dst_sel:DWORD dst_unused:UNUSED_PAD src0_sel:WORD_1 src1_sel:DWORD
	;; [unrolled: 1-line block ×5, first 2 shown]
	v_lshrrev_b32_e32 v88, 16, v34
	v_fma_f16 v22, v41, v58, -v22
	v_fmac_f16_e32 v23, v42, v11
	v_fma_f16 v11, v42, v59, -v31
	v_fmac_f16_e32 v33, v12, v30
	v_fma_f16 v12, v12, v60, -v38
	v_mul_f16_sdwa v30, v13, v61 dst_sel:DWORD dst_unused:UNUSED_PAD src0_sel:WORD_1 src1_sel:DWORD
	v_mul_f16_sdwa v31, v13, v4 dst_sel:DWORD dst_unused:UNUSED_PAD src0_sel:WORD_1 src1_sel:DWORD
	v_mul_f16_sdwa v38, v14, v86 dst_sel:DWORD dst_unused:UNUSED_PAD src0_sel:WORD_1 src1_sel:DWORD
	v_mul_f16_sdwa v41, v14, v32 dst_sel:DWORD dst_unused:UNUSED_PAD src0_sel:WORD_1 src1_sel:DWORD
	v_mul_f16_sdwa v42, v15, v87 dst_sel:DWORD dst_unused:UNUSED_PAD src0_sel:WORD_1 src1_sel:DWORD
	s_waitcnt lgkmcnt(1)
	v_lshrrev_b32_e32 v89, 16, v47
	v_fmac_f16_e32 v30, v13, v4
	v_fma_f16 v4, v13, v61, -v31
	v_fmac_f16_e32 v38, v14, v32
	v_fma_f16 v13, v14, v86, -v41
	v_fmac_f16_e32 v42, v15, v8
	v_mul_f16_sdwa v8, v15, v8 dst_sel:DWORD dst_unused:UNUSED_PAD src0_sel:WORD_1 src1_sel:DWORD
	v_mul_f16_sdwa v14, v39, v88 dst_sel:DWORD dst_unused:UNUSED_PAD src0_sel:WORD_1 src1_sel:DWORD
	;; [unrolled: 1-line block ×5, first 2 shown]
	v_fma_f16 v8, v15, v87, -v8
	v_fmac_f16_e32 v14, v39, v34
	v_fma_f16 v15, v39, v88, -v31
	v_fma_f16 v31, v40, v89, -v41
	v_add_f16_e32 v34, v62, v49
	v_add_f16_e32 v39, v1, v10
	v_sub_f16_e32 v1, v1, v10
	v_add_f16_e32 v10, v90, v18
	v_add_f16_e32 v41, v2, v9
	v_fmac_f16_e32 v32, v40, v47
	v_sub_f16_e32 v40, v62, v49
	v_sub_f16_e32 v18, v90, v18
	;; [unrolled: 1-line block ×3, first 2 shown]
	v_add_f16_e32 v9, v92, v16
	v_add_f16_e32 v47, v5, v6
	v_sub_f16_e32 v16, v16, v92
	v_sub_f16_e32 v5, v6, v5
	v_add_f16_e32 v6, v10, v34
	v_add_f16_e32 v49, v41, v39
	v_sub_f16_e32 v50, v10, v34
	v_sub_f16_e32 v51, v41, v39
	;; [unrolled: 1-line block ×6, first 2 shown]
	v_add_f16_e32 v52, v16, v18
	v_add_f16_e32 v53, v5, v2
	v_sub_f16_e32 v54, v16, v18
	v_sub_f16_e32 v55, v5, v2
	;; [unrolled: 1-line block ×3, first 2 shown]
	v_add_f16_e32 v6, v9, v6
	v_add_f16_e32 v9, v47, v49
	v_sub_f16_e32 v2, v2, v1
	v_sub_f16_e32 v16, v40, v16
	;; [unrolled: 1-line block ×3, first 2 shown]
	v_add_f16_e32 v40, v52, v40
	v_add_f16_e32 v1, v53, v1
	s_waitcnt lgkmcnt(0)
	v_add_f16_e32 v47, v35, v6
	v_add_f16_sdwa v35, v35, v9 dst_sel:DWORD dst_unused:UNUSED_PAD src0_sel:WORD_1 src1_sel:DWORD
	v_mul_f16_e32 v34, 0x3a52, v34
	v_mul_f16_e32 v39, 0x3a52, v39
	;; [unrolled: 1-line block ×8, first 2 shown]
	v_fmamk_f16 v6, v6, 0xbcab, v47
	v_fmamk_f16 v9, v9, 0xbcab, v35
	;; [unrolled: 1-line block ×4, first 2 shown]
	v_fma_f16 v49, v50, 0x39e0, -v49
	v_fma_f16 v52, v51, 0x39e0, -v52
	;; [unrolled: 1-line block ×4, first 2 shown]
	v_fmamk_f16 v50, v16, 0xb574, v53
	v_fmamk_f16 v51, v5, 0xb574, v54
	v_fma_f16 v16, v16, 0x3574, -v55
	v_fma_f16 v5, v5, 0x3574, -v56
	v_fma_f16 v18, v18, 0xbb00, -v53
	v_fma_f16 v2, v2, 0xbb00, -v54
	v_add_f16_e32 v10, v10, v6
	v_add_f16_e32 v41, v41, v9
	;; [unrolled: 1-line block ×6, first 2 shown]
	v_fmac_f16_e32 v50, 0xb70e, v40
	v_fmac_f16_e32 v51, 0xb70e, v1
	;; [unrolled: 1-line block ×6, first 2 shown]
	v_add_f16_e32 v1, v51, v10
	v_sub_f16_e32 v34, v41, v50
	v_add_f16_e32 v39, v5, v6
	v_sub_f16_e32 v40, v9, v16
	v_sub_f16_e32 v5, v6, v5
	v_add_f16_e32 v6, v16, v9
	v_sub_f16_e32 v9, v10, v51
	v_add_f16_e32 v10, v50, v41
	v_add_f16_e32 v16, v17, v23
	;; [unrolled: 1-line block ×3, first 2 shown]
	v_sub_f16_e32 v17, v17, v23
	v_sub_f16_e32 v11, v19, v11
	v_add_f16_e32 v19, v37, v48
	v_add_f16_e32 v23, v3, v22
	v_sub_f16_e32 v37, v37, v48
	v_sub_f16_e32 v3, v3, v22
	v_add_f16_e32 v22, v20, v29
	v_add_f16_e32 v48, v21, v7
	;; [unrolled: 4-line block ×3, first 2 shown]
	v_sub_f16_e32 v53, v49, v2
	v_add_f16_e32 v54, v18, v52
	v_add_f16_e32 v2, v2, v49
	v_sub_f16_e32 v18, v52, v18
	v_sub_f16_e32 v49, v19, v16
	;; [unrolled: 1-line block ×7, first 2 shown]
	v_add_f16_e32 v51, v20, v37
	v_add_f16_e32 v52, v7, v3
	v_sub_f16_e32 v55, v20, v37
	v_sub_f16_e32 v56, v7, v3
	;; [unrolled: 1-line block ×3, first 2 shown]
	v_add_f16_e32 v21, v22, v21
	v_add_f16_e32 v22, v48, v29
	v_sub_f16_e32 v3, v3, v11
	v_sub_f16_e32 v20, v17, v20
	;; [unrolled: 1-line block ×3, first 2 shown]
	v_add_f16_e32 v17, v51, v17
	v_add_f16_e32 v11, v52, v11
	;; [unrolled: 1-line block ×3, first 2 shown]
	v_add_f16_sdwa v36, v36, v22 dst_sel:DWORD dst_unused:UNUSED_PAD src0_sel:WORD_1 src1_sel:DWORD
	v_mul_f16_e32 v16, 0x3a52, v16
	v_mul_f16_e32 v41, 0x3a52, v41
	;; [unrolled: 1-line block ×8, first 2 shown]
	v_fmamk_f16 v21, v21, 0xbcab, v29
	v_fmamk_f16 v22, v22, 0xbcab, v36
	;; [unrolled: 1-line block ×4, first 2 shown]
	v_fma_f16 v48, v49, 0x39e0, -v48
	v_fma_f16 v51, v50, 0x39e0, -v51
	;; [unrolled: 1-line block ×4, first 2 shown]
	v_fmamk_f16 v49, v20, 0xb574, v52
	v_fmamk_f16 v50, v7, 0xb574, v55
	v_fma_f16 v20, v20, 0x3574, -v56
	v_fma_f16 v7, v7, 0x3574, -v57
	;; [unrolled: 1-line block ×3, first 2 shown]
	v_add_f16_e32 v19, v19, v21
	v_add_f16_e32 v23, v23, v22
	;; [unrolled: 1-line block ×5, first 2 shown]
	v_fmac_f16_e32 v49, 0xb70e, v17
	v_fmac_f16_e32 v7, 0xb70e, v11
	;; [unrolled: 1-line block ×3, first 2 shown]
	v_fma_f16 v3, v3, 0xbb00, -v55
	v_add_f16_e32 v51, v51, v22
	v_fmac_f16_e32 v37, 0xb70e, v17
	v_sub_f16_e32 v17, v23, v49
	v_add_f16_e32 v22, v7, v16
	v_sub_f16_e32 v41, v21, v20
	v_sub_f16_e32 v7, v16, v7
	v_add_f16_e32 v16, v20, v21
	v_add_f16_e32 v20, v49, v23
	;; [unrolled: 1-line block ×4, first 2 shown]
	v_sub_f16_e32 v32, v33, v32
	v_sub_f16_e32 v12, v12, v31
	v_add_f16_e32 v31, v30, v14
	v_add_f16_e32 v33, v4, v15
	v_fmac_f16_e32 v50, 0xb70e, v11
	v_fmac_f16_e32 v3, 0xb70e, v11
	v_sub_f16_e32 v14, v30, v14
	v_sub_f16_e32 v4, v4, v15
	v_add_f16_e32 v15, v38, v42
	v_add_f16_e32 v30, v13, v8
	v_sub_f16_e32 v38, v42, v38
	v_sub_f16_e32 v8, v8, v13
	v_add_f16_e32 v13, v31, v21
	v_add_f16_e32 v42, v33, v23
	;; [unrolled: 1-line block ×3, first 2 shown]
	v_sub_f16_e32 v52, v48, v3
	v_add_f16_e32 v55, v37, v51
	v_add_f16_e32 v3, v3, v48
	v_sub_f16_e32 v37, v51, v37
	v_sub_f16_e32 v19, v19, v50
	;; [unrolled: 1-line block ×8, first 2 shown]
	v_add_f16_e32 v50, v38, v14
	v_add_f16_e32 v51, v8, v4
	v_sub_f16_e32 v56, v38, v14
	v_sub_f16_e32 v57, v8, v4
	;; [unrolled: 1-line block ×3, first 2 shown]
	v_add_f16_e32 v13, v15, v13
	v_add_f16_e32 v15, v30, v42
	v_sub_f16_e32 v4, v4, v12
	v_sub_f16_e32 v38, v32, v38
	;; [unrolled: 1-line block ×3, first 2 shown]
	v_add_f16_e32 v30, v50, v32
	v_add_f16_e32 v12, v51, v12
	;; [unrolled: 1-line block ×3, first 2 shown]
	v_add_f16_sdwa v0, v0, v15 dst_sel:DWORD dst_unused:UNUSED_PAD src0_sel:WORD_1 src1_sel:DWORD
	v_mul_f16_e32 v21, 0x3a52, v21
	v_mul_f16_e32 v23, 0x3a52, v23
	;; [unrolled: 1-line block ×8, first 2 shown]
	v_fmamk_f16 v13, v13, 0xbcab, v32
	v_fmamk_f16 v15, v15, 0xbcab, v0
	;; [unrolled: 1-line block ×4, first 2 shown]
	v_fma_f16 v42, v48, 0x39e0, -v42
	v_fma_f16 v50, v49, 0x39e0, -v50
	;; [unrolled: 1-line block ×4, first 2 shown]
	v_fmamk_f16 v48, v38, 0xb574, v51
	v_fmamk_f16 v49, v8, 0xb574, v56
	v_fma_f16 v38, v38, 0x3574, -v57
	v_fma_f16 v8, v8, 0x3574, -v58
	;; [unrolled: 1-line block ×4, first 2 shown]
	v_add_f16_e32 v31, v31, v13
	v_add_f16_e32 v33, v33, v15
	v_add_f16_e32 v42, v42, v13
	v_add_f16_e32 v50, v50, v15
	v_add_f16_e32 v13, v21, v13
	v_add_f16_e32 v15, v23, v15
	v_fmac_f16_e32 v48, 0xb70e, v30
	v_fmac_f16_e32 v49, 0xb70e, v12
	;; [unrolled: 1-line block ×4, first 2 shown]
	v_pack_b32_f16 v1, v1, v34
	v_fmac_f16_e32 v14, 0xb70e, v30
	v_fmac_f16_e32 v4, 0xb70e, v12
	v_add_f16_e32 v12, v49, v31
	v_sub_f16_e32 v21, v33, v48
	v_add_f16_e32 v23, v8, v13
	v_sub_f16_e32 v30, v15, v38
	v_sub_f16_e32 v8, v13, v8
	v_add_f16_e32 v13, v38, v15
	v_sub_f16_e32 v15, v31, v49
	v_add_f16_e32 v31, v48, v33
	v_pack_b32_f16 v33, v39, v40
	v_pack_b32_f16 v34, v47, v35
	;; [unrolled: 1-line block ×3, first 2 shown]
	ds_write_b32 v63, v1 offset:672
	ds_write_b32 v63, v33 offset:1344
	v_pack_b32_f16 v1, v5, v6
	v_pack_b32_f16 v2, v2, v18
	ds_write_b32 v63, v35 offset:2016
	ds_write_b32 v63, v2 offset:2688
	v_pack_b32_f16 v2, v9, v10
	ds_write_b32 v63, v1 offset:3360
	v_pack_b32_f16 v1, v22, v41
	v_pack_b32_f16 v5, v29, v36
	;; [unrolled: 1-line block ×3, first 2 shown]
	ds_write_b32 v63, v2 offset:4032
	ds_write2_b32 v63, v34, v5 offset1:56
	ds_write_b32 v63, v1 offset:1568
	ds_write_b32 v63, v6 offset:2240
	v_pack_b32_f16 v1, v3, v37
	v_sub_f16_e32 v51, v42, v4
	v_add_f16_e32 v56, v14, v50
	v_pack_b32_f16 v3, v7, v16
	v_add_f16_e32 v4, v4, v42
	v_sub_f16_e32 v14, v50, v14
	v_pack_b32_f16 v5, v19, v20
	v_pack_b32_f16 v0, v32, v0
	;; [unrolled: 1-line block ×4, first 2 shown]
	ds_write_b32 v63, v1 offset:2912
	ds_write_b32 v63, v3 offset:3584
	;; [unrolled: 1-line block ×4, first 2 shown]
	ds_write2_b32 v45, v2, v6 offset0:96 offset1:152
	v_pack_b32_f16 v0, v23, v30
	v_pack_b32_f16 v1, v51, v56
	;; [unrolled: 1-line block ×5, first 2 shown]
	ds_write_b32 v63, v0 offset:1792
	ds_write_b32 v63, v1 offset:2464
	;; [unrolled: 1-line block ×5, first 2 shown]
	s_waitcnt lgkmcnt(0)
	s_barrier
	buffer_gl0_inv
	ds_read2_b32 v[0:1], v63 offset1:56
	ds_read2_b32 v[6:7], v46 offset0:76 offset1:132
	s_waitcnt lgkmcnt(1)
	v_lshrrev_b32_e32 v4, 16, v0
	s_waitcnt lgkmcnt(0)
	v_lshrrev_b32_e32 v12, 16, v6
	v_mul_f16_sdwa v2, v85, v4 dst_sel:DWORD dst_unused:UNUSED_PAD src0_sel:WORD_1 src1_sel:DWORD
	v_mul_f16_sdwa v11, v84, v12 dst_sel:DWORD dst_unused:UNUSED_PAD src0_sel:WORD_1 src1_sel:DWORD
	v_fmac_f16_e32 v2, v85, v0
	v_mul_f16_sdwa v0, v85, v0 dst_sel:DWORD dst_unused:UNUSED_PAD src0_sel:WORD_1 src1_sel:DWORD
	v_fmac_f16_e32 v11, v84, v6
	v_mul_f16_sdwa v6, v84, v6 dst_sel:DWORD dst_unused:UNUSED_PAD src0_sel:WORD_1 src1_sel:DWORD
	v_cvt_f32_f16_e32 v2, v2
	v_fma_f16 v0, v85, v4, -v0
	v_fma_f16 v6, v84, v12, -v6
	v_cvt_f64_f32_e32 v[2:3], v2
	v_cvt_f32_f16_e32 v0, v0
	v_cvt_f32_f16_e32 v6, v6
	v_cvt_f64_f32_e32 v[4:5], v0
	v_mul_f64 v[2:3], v[2:3], s[4:5]
	v_mul_f64 v[4:5], v[4:5], s[4:5]
	v_and_or_b32 v0, 0x1ff, v3, v2
	v_lshrrev_b32_e32 v2, 8, v3
	v_bfe_u32 v8, v3, 20, 11
	v_cmp_ne_u32_e64 s0, 0, v0
	v_and_or_b32 v4, 0x1ff, v5, v4
	v_lshrrev_b32_e32 v13, 8, v5
	v_bfe_u32 v14, v5, 20, 11
	v_add_nc_u32_e32 v15, 0xfffffc10, v8
	v_cndmask_b32_e64 v0, 0, 1, s0
	v_cmp_ne_u32_e64 s0, 0, v4
	v_and_or_b32 v0, 0xffe, v2, v0
	v_sub_nc_u32_e32 v2, 0x3f1, v8
	v_cndmask_b32_e64 v4, 0, 1, s0
	v_sub_nc_u32_e32 v8, 0x3f1, v14
	v_add_nc_u32_e32 v14, 0xfffffc10, v14
	v_or_b32_e32 v9, 0x1000, v0
	v_med3_i32 v2, v2, 0, 13
	v_and_or_b32 v4, 0xffe, v13, v4
	v_lshrrev_b32_e32 v10, v2, v9
	v_or_b32_e32 v13, 0x1000, v4
	v_lshlrev_b32_e32 v2, v2, v10
	v_cmp_ne_u32_e64 s0, v2, v9
	v_cvt_f32_f16_e32 v9, v11
	v_med3_i32 v11, v8, 0, 13
	v_cndmask_b32_e64 v2, 0, 1, s0
	v_cmp_gt_i32_e64 s0, 1, v15
	v_cvt_f64_f32_e32 v[8:9], v9
	v_lshrrev_b32_e32 v16, v11, v13
	v_or_b32_e32 v2, v10, v2
	v_lshl_or_b32 v10, v15, 12, v0
	v_lshlrev_b32_e32 v18, v11, v16
	v_cndmask_b32_e64 v2, v10, v2, s0
	v_mad_u64_u32 v[10:11], null, s10, v28, 0
	v_cmp_ne_u32_e64 s2, v18, v13
	v_and_b32_e32 v17, 7, v2
	v_lshrrev_b32_e32 v2, 2, v2
	v_cndmask_b32_e64 v13, 0, 1, s2
	v_cmp_lt_i32_e64 s0, 5, v17
	v_cmp_eq_u32_e64 s1, 3, v17
	v_or_b32_e32 v13, v16, v13
	v_lshl_or_b32 v16, v14, 12, v4
	v_mul_f64 v[8:9], v[8:9], s[4:5]
	s_or_b32 s0, s1, s0
	v_add_co_ci_u32_e64 v2, s0, 0, v2, s0
	v_cmp_ne_u32_e64 s0, 0, v0
	v_cndmask_b32_e64 v0, 0, 1, s0
	v_cmp_gt_i32_e64 s0, 1, v14
	v_lshl_or_b32 v12, v0, 9, 0x7c00
	v_cndmask_b32_e64 v13, v16, v13, s0
	v_cmp_gt_i32_e64 s0, 31, v15
	v_lshrrev_b32_e32 v16, 16, v3
	v_mov_b32_e32 v0, v11
	v_and_b32_e32 v11, 7, v13
	v_cndmask_b32_e64 v2, 0x7c00, v2, s0
	v_cmp_eq_u32_e64 s0, 0x40f, v15
	v_and_or_b32 v8, 0x1ff, v9, v8
	v_cmp_eq_u32_e64 s1, 3, v11
	v_cndmask_b32_e64 v15, v2, v12, s0
	v_cvt_f64_f32_e32 v[2:3], v6
	v_cmp_lt_i32_e64 s0, 5, v11
	v_mad_u64_u32 v[11:12], null, s11, v28, v[0:1]
	v_lshrrev_b32_e32 v0, 2, v13
	v_and_or_b32 v6, 0x8000, v16, v15
	s_or_b32 s0, s1, s0
	v_lshrrev_b32_e32 v15, 8, v9
	v_bfe_u32 v16, v9, 20, 11
	v_add_co_ci_u32_e64 v0, s0, 0, v0, s0
	v_cmp_ne_u32_e64 s0, 0, v8
	v_mad_u64_u32 v[12:13], null, s8, v81, 0
	v_and_b32_e32 v6, 0xffff, v6
	v_lshrrev_b32_e32 v9, 16, v9
	v_cndmask_b32_e64 v8, 0, 1, s0
	v_cmp_ne_u32_e64 s0, 0, v4
	v_and_or_b32 v8, 0xffe, v15, v8
	v_mul_f64 v[2:3], v[2:3], s[4:5]
	v_cndmask_b32_e64 v4, 0, 1, s0
	v_cmp_gt_i32_e64 s0, 31, v14
	v_sub_nc_u32_e32 v15, 0x3f1, v16
	v_or_b32_e32 v18, 0x1000, v8
	v_lshl_or_b32 v4, v4, 9, 0x7c00
	v_cndmask_b32_e64 v17, 0x7c00, v0, s0
	v_mov_b32_e32 v0, v13
	v_med3_i32 v13, v15, 0, 13
	v_cmp_eq_u32_e64 s0, 0x40f, v14
	v_lshrrev_b32_e32 v15, 16, v5
	v_cndmask_b32_e64 v14, v17, v4, s0
	v_mad_u64_u32 v[4:5], null, s9, v81, v[0:1]
	v_lshrrev_b32_e32 v0, v13, v18
	v_and_or_b32 v5, 0x8000, v15, v14
	v_add_nc_u32_e32 v15, 0xfffffc10, v16
	v_and_or_b32 v2, 0x1ff, v3, v2
	v_lshlrev_b32_e32 v14, v13, v0
	v_lshrrev_b32_e32 v16, 16, v1
	v_mov_b32_e32 v13, v4
	v_lshl_or_b32 v6, v5, 16, v6
	v_lshlrev_b64 v[4:5], 2, v[10:11]
	v_cmp_ne_u32_e64 s0, v14, v18
	v_lshl_or_b32 v10, v15, 12, v8
	v_bfe_u32 v17, v3, 20, 11
	v_mul_f16_sdwa v11, v83, v16 dst_sel:DWORD dst_unused:UNUSED_PAD src0_sel:WORD_1 src1_sel:DWORD
	v_cndmask_b32_e64 v14, 0, 1, s0
	v_cmp_ne_u32_e64 s0, 0, v2
	v_fmac_f16_e32 v11, v83, v1
	v_mul_f16_sdwa v1, v83, v1 dst_sel:DWORD dst_unused:UNUSED_PAD src0_sel:WORD_1 src1_sel:DWORD
	v_or_b32_e32 v0, v0, v14
	v_cndmask_b32_e64 v2, 0, 1, s0
	v_lshrrev_b32_e32 v14, 8, v3
	v_cmp_gt_i32_e64 s0, 1, v15
	v_fma_f16 v16, v83, v16, -v1
	v_and_or_b32 v2, 0xffe, v14, v2
	v_cndmask_b32_e64 v18, v10, v0, s0
	v_sub_nc_u32_e32 v0, 0x3f1, v17
	v_cvt_f32_f16_e32 v10, v11
	v_cvt_f32_f16_e32 v16, v16
	v_or_b32_e32 v19, 0x1000, v2
	v_and_b32_e32 v14, 7, v18
	v_med3_i32 v20, v0, 0, 13
	v_add_co_u32 v0, s0, s6, v4
	v_add_co_ci_u32_e64 v1, s0, s7, v5, s0
	v_lshrrev_b32_e32 v21, v20, v19
	v_cmp_lt_i32_e64 s0, 5, v14
	v_cmp_eq_u32_e64 s1, 3, v14
	v_cvt_f64_f32_e32 v[10:11], v10
	v_lshrrev_b32_e32 v14, 2, v18
	v_lshlrev_b32_e32 v18, v20, v21
	v_lshlrev_b64 v[4:5], 2, v[12:13]
	s_or_b32 s0, s1, s0
	v_cvt_f64_f32_e32 v[12:13], v16
	v_add_co_ci_u32_e64 v14, s0, 0, v14, s0
	v_cmp_ne_u32_e64 s0, v18, v19
	v_add_nc_u32_e32 v17, 0xfffffc10, v17
	v_lshrrev_b32_e32 v20, 16, v3
	s_mul_i32 s6, s8, 0x24c
	v_cndmask_b32_e64 v16, 0, 1, s0
	v_cmp_ne_u32_e64 s0, 0, v8
	v_lshl_or_b32 v18, v17, 12, v2
	v_or_b32_e32 v16, v21, v16
	v_cndmask_b32_e64 v8, 0, 1, s0
	v_cmp_gt_i32_e64 s0, 31, v15
	v_mul_f64 v[10:11], v[10:11], s[4:5]
	v_lshl_or_b32 v8, v8, 9, 0x7c00
	v_cndmask_b32_e64 v14, 0x7c00, v14, s0
	v_cmp_gt_i32_e64 s0, 1, v17
	v_mul_f64 v[12:13], v[12:13], s[4:5]
	v_cndmask_b32_e64 v16, v18, v16, s0
	v_add_co_u32 v4, s0, v0, v4
	v_add_co_ci_u32_e64 v5, s0, v1, v5, s0
	v_and_b32_e32 v18, 7, v16
	v_cmp_eq_u32_e64 s0, 0x40f, v15
	v_lshrrev_b32_e32 v15, 16, v7
	global_store_dword v[4:5], v6, off
	v_lshrrev_b32_e32 v6, 2, v16
	v_cmp_eq_u32_e64 s1, 3, v18
	v_cndmask_b32_e64 v8, v14, v8, s0
	v_cmp_lt_i32_e64 s0, 5, v18
	v_bfe_u32 v14, v11, 20, 11
	v_mul_f16_sdwa v18, v82, v15 dst_sel:DWORD dst_unused:UNUSED_PAD src0_sel:WORD_1 src1_sel:DWORD
	v_and_or_b32 v8, 0x8000, v9, v8
	s_or_b32 s0, s1, s0
	v_and_or_b32 v9, 0x1ff, v11, v10
	v_add_co_ci_u32_e64 v6, s0, 0, v6, s0
	v_cmp_ne_u32_e64 s0, 0, v2
	v_lshrrev_b32_e32 v10, 8, v11
	v_and_or_b32 v12, 0x1ff, v13, v12
	v_lshrrev_b32_e32 v16, 8, v13
	v_fmac_f16_e32 v18, v82, v7
	v_cndmask_b32_e64 v2, 0, 1, s0
	v_cmp_ne_u32_e64 s0, 0, v9
	s_mul_i32 s1, s9, 0x24c
	v_and_b32_e32 v8, 0xffff, v8
	v_lshl_or_b32 v2, v2, 9, 0x7c00
	v_cndmask_b32_e64 v9, 0, 1, s0
	v_cmp_gt_i32_e64 s0, 31, v17
	v_and_or_b32 v9, 0xffe, v10, v9
	v_cndmask_b32_e64 v6, 0x7c00, v6, s0
	v_sub_nc_u32_e32 v10, 0x3f1, v14
	v_cmp_eq_u32_e64 s0, 0x40f, v17
	v_bfe_u32 v17, v13, 20, 11
	v_add_nc_u32_e32 v14, 0xfffffc10, v14
	v_lshrrev_b32_e32 v13, 16, v13
	v_med3_i32 v10, v10, 0, 13
	v_cndmask_b32_e64 v6, v6, v2, s0
	v_or_b32_e32 v2, 0x1000, v9
	v_cmp_ne_u32_e64 s0, 0, v12
	v_sub_nc_u32_e32 v3, 0x3f1, v17
	v_add_nc_u32_e32 v17, 0xfffffc10, v17
	v_and_or_b32 v6, 0x8000, v20, v6
	v_lshrrev_b32_e32 v19, v10, v2
	v_cndmask_b32_e64 v12, 0, 1, s0
	v_med3_i32 v21, v3, 0, 13
	v_cvt_f32_f16_e32 v3, v18
	v_cmp_gt_i32_e64 s2, 1, v17
	v_lshlrev_b32_e32 v10, v10, v19
	v_and_or_b32 v12, 0xffe, v16, v12
	v_lshl_or_b32 v20, v6, 16, v8
	v_mul_f16_sdwa v6, v82, v7 dst_sel:DWORD dst_unused:UNUSED_PAD src0_sel:WORD_1 src1_sel:DWORD
	v_cmp_ne_u32_e64 s0, v10, v2
	v_or_b32_e32 v16, 0x1000, v12
	v_cvt_f64_f32_e32 v[2:3], v3
	v_fma_f16 v6, v82, v15, -v6
	v_cndmask_b32_e64 v10, 0, 1, s0
	v_lshrrev_b32_e32 v18, v21, v16
	s_mul_hi_u32 s0, s8, 0x24c
	s_add_i32 s7, s0, s1
	v_or_b32_e32 v10, v19, v10
	v_lshl_or_b32 v19, v14, 12, v9
	v_lshlrev_b32_e32 v21, v21, v18
	v_cmp_gt_i32_e64 s0, 1, v14
	s_lshl_b64 s[6:7], s[6:7], 2
	v_cndmask_b32_e64 v10, v19, v10, s0
	v_cmp_ne_u32_e64 s0, v21, v16
	v_and_b32_e32 v19, 7, v10
	v_cndmask_b32_e64 v16, 0, 1, s0
	v_lshrrev_b32_e32 v7, 2, v10
	v_mul_f64 v[2:3], v[2:3], s[4:5]
	v_cmp_lt_i32_e64 s0, 5, v19
	v_or_b32_e32 v16, v18, v16
	v_lshl_or_b32 v18, v17, 12, v12
	v_cmp_eq_u32_e64 s1, 3, v19
	v_cndmask_b32_e64 v8, v18, v16, s2
	s_or_b32 s0, s1, s0
	v_cmp_gt_i32_e64 s2, 31, v14
	v_add_co_ci_u32_e64 v15, s0, 0, v7, s0
	v_and_b32_e32 v10, 7, v8
	v_cmp_ne_u32_e64 s0, 0, v9
	v_cvt_f32_f16_e32 v9, v6
	ds_read2_b32 v[6:7], v63 offset0:112 offset1:168
	v_cndmask_b32_e64 v15, 0x7c00, v15, s2
	v_cmp_eq_u32_e64 s1, 3, v10
	v_cndmask_b32_e64 v16, 0, 1, s0
	v_cmp_lt_i32_e64 s0, 5, v10
	v_lshrrev_b32_e32 v10, 2, v8
	v_cvt_f64_f32_e32 v[8:9], v9
	v_and_or_b32 v2, 0x1ff, v3, v2
	v_lshl_or_b32 v16, v16, 9, 0x7c00
	s_or_b32 s0, s1, s0
	s_mul_hi_u32 s1, s8, 0xfffffdec
	v_add_co_ci_u32_e64 v10, s0, 0, v10, s0
	v_cmp_eq_u32_e64 s0, 0x40f, v14
	s_mul_i32 s2, s9, 0xfffffdec
	s_sub_i32 s1, s1, s8
	s_add_i32 s3, s1, s2
	v_cndmask_b32_e64 v14, v15, v16, s0
	v_cmp_gt_i32_e64 s0, 31, v17
	v_lshrrev_b32_e32 v15, 16, v11
	v_lshrrev_b32_e32 v11, 8, v3
	v_bfe_u32 v16, v3, 20, 11
	s_waitcnt lgkmcnt(0)
	v_lshrrev_b32_e32 v18, 16, v6
	v_cndmask_b32_e64 v10, 0x7c00, v10, s0
	v_cmp_ne_u32_e64 s0, 0, v2
	v_and_or_b32 v14, 0x8000, v15, v14
	s_mul_i32 s2, s8, 0xfffffdec
	v_mul_f64 v[8:9], v[8:9], s[4:5]
	v_mul_f16_sdwa v19, v80, v18 dst_sel:DWORD dst_unused:UNUSED_PAD src0_sel:WORD_1 src1_sel:DWORD
	v_cndmask_b32_e64 v2, 0, 1, s0
	v_cmp_ne_u32_e64 s0, 0, v12
	v_and_b32_e32 v14, 0xffff, v14
	s_lshl_b64 s[10:11], s[2:3], 2
	v_fmac_f16_e32 v19, v80, v6
	v_and_or_b32 v2, 0xffe, v11, v2
	v_sub_nc_u32_e32 v11, 0x3f1, v16
	v_cndmask_b32_e64 v12, 0, 1, s0
	v_cmp_eq_u32_e64 s0, 0x40f, v17
	v_add_nc_u32_e32 v16, 0xfffffc10, v16
	v_or_b32_e32 v21, 0x1000, v2
	v_med3_i32 v11, v11, 0, 13
	v_lshl_or_b32 v12, v12, 9, 0x7c00
	v_mul_f16_sdwa v6, v80, v6 dst_sel:DWORD dst_unused:UNUSED_PAD src0_sel:WORD_1 src1_sel:DWORD
	v_lshl_or_b32 v15, v16, 12, v2
	v_lshrrev_b32_e32 v17, v11, v21
	v_cndmask_b32_e64 v12, v10, v12, s0
	v_cvt_f32_f16_e32 v10, v19
	v_add_co_u32 v4, s0, v4, s6
	v_lshlrev_b32_e32 v19, v11, v17
	v_add_co_ci_u32_e64 v5, s0, s7, v5, s0
	v_cvt_f64_f32_e32 v[10:11], v10
	v_and_or_b32 v8, 0x1ff, v9, v8
	v_cmp_ne_u32_e64 s0, v19, v21
	v_and_or_b32 v12, 0x8000, v13, v12
	v_bfe_u32 v19, v9, 20, 11
	v_fma_f16 v6, v80, v18, -v6
	global_store_dword v[4:5], v20, off
	v_cndmask_b32_e64 v13, 0, 1, s0
	v_cmp_ne_u32_e64 s0, 0, v8
	v_lshl_or_b32 v22, v12, 16, v14
	v_cvt_f32_f16_e32 v6, v6
	v_add_nc_u32_e32 v18, 0xfffffc10, v19
	v_or_b32_e32 v13, v17, v13
	v_cndmask_b32_e64 v8, 0, 1, s0
	v_lshrrev_b32_e32 v17, 8, v9
	v_cmp_gt_i32_e64 s0, 1, v16
	v_and_or_b32 v8, 0xffe, v17, v8
	v_cndmask_b32_e64 v13, v15, v13, s0
	v_sub_nc_u32_e32 v15, 0x3f1, v19
	v_mul_f64 v[10:11], v[10:11], s[4:5]
	v_or_b32_e32 v21, 0x1000, v8
	v_and_b32_e32 v17, 7, v13
	v_med3_i32 v15, v15, 0, 13
	v_lshrrev_b32_e32 v12, 2, v13
	v_cmp_lt_i32_e64 s0, 5, v17
	v_lshrrev_b32_e32 v14, v15, v21
	v_cmp_eq_u32_e64 s1, 3, v17
	v_lshlrev_b32_e32 v15, v15, v14
	s_or_b32 s0, s1, s0
	v_add_co_ci_u32_e64 v17, s0, 0, v12, s0
	v_cmp_ne_u32_e64 s0, v15, v21
	v_cvt_f64_f32_e32 v[12:13], v6
	v_and_or_b32 v10, 0x1ff, v11, v10
	v_lshrrev_b32_e32 v15, 8, v11
	v_cndmask_b32_e64 v6, 0, 1, s0
	v_cmp_ne_u32_e64 s0, 0, v2
	v_bfe_u32 v19, v11, 20, 11
	v_lshrrev_b32_e32 v11, 16, v11
	v_or_b32_e32 v6, v14, v6
	v_cndmask_b32_e64 v2, 0, 1, s0
	v_cmp_ne_u32_e64 s0, 0, v10
	v_lshl_or_b32 v14, v18, 12, v8
	v_sub_nc_u32_e32 v21, 0x3f1, v19
	v_add_nc_u32_e32 v19, 0xfffffc10, v19
	v_lshl_or_b32 v2, v2, 9, 0x7c00
	v_cndmask_b32_e64 v10, 0, 1, s0
	v_cmp_gt_i32_e64 s0, 1, v18
	v_med3_i32 v21, v21, 0, 13
	v_and_or_b32 v10, 0xffe, v15, v10
	v_cndmask_b32_e64 v6, v14, v6, s0
	v_cmp_gt_i32_e64 s0, 31, v16
	v_mul_f64 v[12:13], v[12:13], s[4:5]
	ds_read2_b32 v[14:15], v46 offset0:188 offset1:244
	v_or_b32_e32 v28, 0x1000, v10
	v_and_b32_e32 v23, 7, v6
	v_cndmask_b32_e64 v17, 0x7c00, v17, s0
	v_cmp_eq_u32_e64 s0, 0x40f, v16
	v_lshrrev_b32_e32 v6, 2, v6
	v_cmp_eq_u32_e64 s1, 3, v23
	v_cndmask_b32_e64 v16, v17, v2, s0
	v_lshrrev_b32_e32 v17, 16, v3
	v_cmp_lt_i32_e64 s0, 5, v23
	v_lshrrev_b32_e32 v23, v21, v28
	v_add_co_u32 v2, s2, v4, s10
	v_and_or_b32 v29, 0x8000, v17, v16
	s_or_b32 s0, s1, s0
	v_lshlrev_b32_e32 v16, v21, v23
	v_add_co_ci_u32_e64 v6, s0, 0, v6, s0
	s_waitcnt lgkmcnt(0)
	v_lshrrev_b32_e32 v21, 16, v14
	v_and_or_b32 v12, 0x1ff, v13, v12
	v_cmp_ne_u32_e64 s0, v16, v28
	v_lshrrev_b32_e32 v28, 8, v13
	v_bfe_u32 v30, v13, 20, 11
	v_mul_f16_sdwa v17, v79, v21 dst_sel:DWORD dst_unused:UNUSED_PAD src0_sel:WORD_1 src1_sel:DWORD
	v_add_co_ci_u32_e64 v3, s2, s11, v5, s2
	v_cndmask_b32_e64 v16, 0, 1, s0
	v_cmp_ne_u32_e64 s0, 0, v8
	v_fmac_f16_e32 v17, v79, v14
	global_store_dword v[2:3], v22, off
	v_lshrrev_b32_e32 v13, 16, v13
	v_or_b32_e32 v16, v23, v16
	v_cndmask_b32_e64 v8, 0, 1, s0
	v_cmp_ne_u32_e64 s0, 0, v12
	v_lshl_or_b32 v23, v19, 12, v10
	v_cvt_f32_f16_e32 v17, v17
	v_lshl_or_b32 v8, v8, 9, 0x7c00
	v_cndmask_b32_e64 v12, 0, 1, s0
	v_cmp_gt_i32_e64 s0, 1, v19
	v_and_or_b32 v12, 0xffe, v28, v12
	v_cndmask_b32_e64 v23, v23, v16, s0
	v_cmp_gt_i32_e64 s0, 31, v18
	v_sub_nc_u32_e32 v28, 0x3f1, v30
	v_cvt_f64_f32_e32 v[16:17], v17
	v_or_b32_e32 v32, 0x1000, v12
	v_and_b32_e32 v31, 7, v23
	v_cndmask_b32_e64 v6, 0x7c00, v6, s0
	v_cmp_eq_u32_e64 s0, 0x40f, v18
	v_med3_i32 v28, v28, 0, 13
	v_cmp_eq_u32_e64 s1, 3, v31
	v_cndmask_b32_e64 v6, v6, v8, s0
	v_lshrrev_b32_e32 v8, 16, v9
	v_mul_f16_sdwa v9, v79, v14 dst_sel:DWORD dst_unused:UNUSED_PAD src0_sel:WORD_1 src1_sel:DWORD
	v_lshrrev_b32_e32 v14, v28, v32
	v_cmp_lt_i32_e64 s0, 5, v31
	v_and_or_b32 v6, 0x8000, v8, v6
	v_lshrrev_b32_e32 v8, 2, v23
	v_lshlrev_b32_e32 v18, v28, v14
	s_or_b32 s0, s1, s0
	v_fma_f16 v9, v79, v21, -v9
	v_add_nc_u32_e32 v28, 0xfffffc10, v30
	v_add_co_ci_u32_e64 v21, s0, 0, v8, s0
	v_cmp_ne_u32_e64 s0, v18, v32
	v_cvt_f32_f16_e32 v23, v9
	v_mul_f64 v[8:9], v[16:17], s[4:5]
	v_cndmask_b32_e64 v18, 0, 1, s0
	v_cmp_ne_u32_e64 s0, 0, v10
	v_cvt_f64_f32_e32 v[16:17], v23
	v_and_b32_e32 v23, 0xffff, v29
	v_or_b32_e32 v14, v14, v18
	v_cndmask_b32_e64 v10, 0, 1, s0
	v_cmp_gt_i32_e64 s0, 31, v19
	v_lshl_or_b32 v18, v28, 12, v12
	v_lshl_or_b32 v10, v10, 9, 0x7c00
	v_cndmask_b32_e64 v21, 0x7c00, v21, s0
	v_cmp_gt_i32_e64 s0, 1, v28
	v_cndmask_b32_e64 v14, v18, v14, s0
	v_cmp_eq_u32_e64 s0, 0x40f, v19
	v_and_or_b32 v8, 0x1ff, v9, v8
	v_lshl_or_b32 v18, v6, 16, v23
	v_mul_f16_sdwa v23, v78, v7 dst_sel:DWORD dst_unused:UNUSED_PAD src0_sel:WORD_1 src1_sel:DWORD
	v_and_b32_e32 v4, 7, v14
	v_cndmask_b32_e64 v10, v21, v10, s0
	v_cmp_ne_u32_e64 s2, 0, v8
	v_cmp_lt_i32_e64 s0, 5, v4
	v_cmp_eq_u32_e64 s1, 3, v4
	v_mul_f64 v[4:5], v[16:17], s[4:5]
	v_and_or_b32 v6, 0x8000, v11, v10
	v_lshrrev_b32_e32 v10, 2, v14
	v_cndmask_b32_e64 v8, 0, 1, s2
	v_lshrrev_b32_e32 v11, 8, v9
	v_bfe_u32 v14, v9, 20, 11
	s_or_b32 s0, s1, s0
	v_lshrrev_b32_e32 v16, 16, v7
	v_add_co_ci_u32_e64 v10, s0, 0, v10, s0
	v_and_or_b32 v8, 0xffe, v11, v8
	v_sub_nc_u32_e32 v11, 0x3f1, v14
	v_cmp_ne_u32_e64 s0, 0, v12
	v_mul_f16_sdwa v19, v78, v16 dst_sel:DWORD dst_unused:UNUSED_PAD src0_sel:WORD_1 src1_sel:DWORD
	v_add_nc_u32_e32 v14, 0xfffffc10, v14
	v_or_b32_e32 v17, 0x1000, v8
	v_med3_i32 v11, v11, 0, 13
	v_cndmask_b32_e64 v12, 0, 1, s0
	v_cmp_gt_i32_e64 s0, 31, v28
	v_fmac_f16_e32 v19, v78, v7
	v_and_b32_e32 v6, 0xffff, v6
	v_lshrrev_b32_e32 v20, v11, v17
	v_lshl_or_b32 v12, v12, 9, 0x7c00
	v_cndmask_b32_e64 v10, 0x7c00, v10, s0
	v_and_or_b32 v4, 0x1ff, v5, v4
	v_cmp_eq_u32_e64 s0, 0x40f, v28
	v_lshlrev_b32_e32 v21, v11, v20
	v_bfe_u32 v22, v5, 20, 11
	v_fma_f16 v16, v78, v16, -v23
	v_cndmask_b32_e64 v12, v10, v12, s0
	v_cmp_ne_u32_e64 s0, 0, v4
	v_cvt_f32_f16_e32 v10, v19
	v_lshrrev_b32_e32 v19, 8, v5
	v_cvt_f32_f16_e32 v16, v16
	v_and_or_b32 v12, 0x8000, v13, v12
	v_cndmask_b32_e64 v4, 0, 1, s0
	v_cmp_ne_u32_e64 s0, v21, v17
	v_cvt_f64_f32_e32 v[10:11], v10
	v_and_or_b32 v4, 0xffe, v19, v4
	v_cndmask_b32_e64 v17, 0, 1, s0
	v_sub_nc_u32_e32 v19, 0x3f1, v22
	v_cmp_gt_i32_e64 s0, 1, v14
	v_or_b32_e32 v21, 0x1000, v4
	v_or_b32_e32 v17, v20, v17
	v_lshl_or_b32 v20, v14, 12, v8
	v_med3_i32 v19, v19, 0, 13
	v_cndmask_b32_e64 v13, v20, v17, s0
	v_lshrrev_b32_e32 v17, v19, v21
	v_add_co_u32 v2, s0, v2, s6
	v_add_co_ci_u32_e64 v3, s0, s7, v3, s0
	v_lshlrev_b32_e32 v19, v19, v17
	v_lshl_or_b32 v20, v12, 16, v6
	v_and_b32_e32 v12, 7, v13
	v_mul_f64 v[10:11], v[10:11], s[4:5]
	v_add_co_u32 v6, s0, v2, s10
	v_cmp_ne_u32_e64 s1, v19, v21
	v_add_co_ci_u32_e64 v7, s0, s11, v3, s0
	v_cmp_lt_i32_e64 s0, 5, v12
	v_add_nc_u32_e32 v21, 0xfffffc10, v22
	v_cndmask_b32_e64 v19, 0, 1, s1
	v_cmp_eq_u32_e64 s1, 3, v12
	v_lshrrev_b32_e32 v22, 2, v13
	v_cvt_f64_f32_e32 v[12:13], v16
	global_store_dword v[2:3], v18, off
	global_store_dword v[6:7], v20, off
	v_or_b32_e32 v17, v17, v19
	s_or_b32 s0, s1, s0
	v_lshl_or_b32 v19, v21, 12, v4
	v_add_co_ci_u32_e64 v16, s0, 0, v22, s0
	v_cmp_ne_u32_e64 s0, 0, v8
	v_and_or_b32 v10, 0x1ff, v11, v10
	v_cndmask_b32_e64 v8, 0, 1, s0
	v_cmp_gt_i32_e64 s0, 1, v21
	v_lshrrev_b32_e32 v22, 8, v11
	v_bfe_u32 v23, v11, 20, 11
	v_lshrrev_b32_e32 v11, 16, v11
	v_lshl_or_b32 v8, v8, 9, 0x7c00
	v_cndmask_b32_e64 v17, v19, v17, s0
	v_cmp_gt_i32_e64 s0, 31, v14
	v_and_b32_e32 v19, 7, v17
	v_cndmask_b32_e64 v16, 0x7c00, v16, s0
	v_cmp_ne_u32_e64 s0, 0, v10
	v_cmp_eq_u32_e64 s1, 3, v19
	v_cndmask_b32_e64 v10, 0, 1, s0
	v_cmp_eq_u32_e64 s0, 0x40f, v14
	v_and_or_b32 v10, 0xffe, v22, v10
	v_cndmask_b32_e64 v14, v16, v8, s0
	v_cmp_lt_i32_e64 s0, 5, v19
	v_lshrrev_b32_e32 v16, 16, v9
	v_mul_f64 v[8:9], v[12:13], s[4:5]
	v_lshrrev_b32_e32 v13, 2, v17
	v_sub_nc_u32_e32 v22, 0x3f1, v23
	s_or_b32 s0, s1, s0
	v_or_b32_e32 v17, 0x1000, v10
	v_lshrrev_b32_e32 v12, 16, v15
	v_add_co_ci_u32_e64 v13, s0, 0, v13, s0
	v_med3_i32 v19, v22, 0, 13
	v_cmp_ne_u32_e64 s0, 0, v4
	v_mul_f16_sdwa v22, v77, v12 dst_sel:DWORD dst_unused:UNUSED_PAD src0_sel:WORD_1 src1_sel:DWORD
	v_and_or_b32 v14, 0x8000, v16, v14
	v_lshrrev_b32_e32 v28, v19, v17
	v_cndmask_b32_e64 v4, 0, 1, s0
	v_cmp_gt_i32_e64 s0, 31, v21
	v_fmac_f16_e32 v22, v77, v15
	v_and_b32_e32 v14, 0xffff, v14
	v_lshlrev_b32_e32 v16, v19, v28
	v_lshl_or_b32 v4, v4, 9, 0x7c00
	v_cndmask_b32_e64 v13, 0x7c00, v13, s0
	v_cmp_eq_u32_e64 s0, 0x40f, v21
	v_and_or_b32 v8, 0x1ff, v9, v8
	v_cvt_f32_f16_e32 v19, v22
	v_lshrrev_b32_e32 v21, 16, v5
	v_bfe_u32 v22, v9, 20, 11
	v_cndmask_b32_e64 v13, v13, v4, s0
	v_cmp_ne_u32_e64 s0, v16, v17
	v_cvt_f64_f32_e32 v[4:5], v19
	v_add_nc_u32_e32 v17, 0xfffffc10, v23
	v_lshrrev_b32_e32 v19, 8, v9
	v_and_or_b32 v13, 0x8000, v21, v13
	v_cndmask_b32_e64 v16, 0, 1, s0
	v_cmp_ne_u32_e64 s0, 0, v8
	v_lshl_or_b32 v21, v17, 12, v10
	v_mul_f16_sdwa v15, v77, v15 dst_sel:DWORD dst_unused:UNUSED_PAD src0_sel:WORD_1 src1_sel:DWORD
	v_lshl_or_b32 v14, v13, 16, v14
	v_or_b32_e32 v16, v28, v16
	v_cndmask_b32_e64 v8, 0, 1, s0
	v_cmp_gt_i32_e64 s0, 1, v17
	v_and_or_b32 v8, 0xffe, v19, v8
	v_sub_nc_u32_e32 v19, 0x3f1, v22
	v_cndmask_b32_e64 v16, v21, v16, s0
	v_or_b32_e32 v21, 0x1000, v8
	v_med3_i32 v19, v19, 0, 13
	v_and_b32_e32 v13, 7, v16
	v_mul_f64 v[2:3], v[4:5], s[4:5]
	v_add_co_u32 v4, s0, v6, s6
	v_lshrrev_b32_e32 v18, v19, v21
	v_add_co_ci_u32_e64 v5, s0, s7, v7, s0
	v_cmp_lt_i32_e64 s0, 5, v13
	v_cmp_eq_u32_e64 s1, 3, v13
	v_lshlrev_b32_e32 v6, v19, v18
	v_fma_f16 v7, v77, v12, -v15
	v_lshrrev_b32_e32 v12, 2, v16
	v_add_nc_u32_e32 v15, 0xfffffc10, v22
	s_or_b32 s0, s1, s0
	v_cmp_ne_u32_e64 s2, v6, v21
	v_cvt_f32_f16_e32 v7, v7
	v_add_co_ci_u32_e64 v16, s0, 0, v12, s0
	v_cmp_ne_u32_e64 s0, 0, v10
	v_cndmask_b32_e64 v6, 0, 1, s2
	v_lshl_or_b32 v19, v15, 12, v8
	ds_read2_b32 v[12:13], v45 offset0:96 offset1:152
	global_store_dword v[4:5], v14, off
	v_cndmask_b32_e64 v10, 0, 1, s0
	v_or_b32_e32 v18, v18, v6
	v_cvt_f64_f32_e32 v[6:7], v7
	v_cmp_gt_i32_e64 s0, 1, v15
	v_and_or_b32 v2, 0x1ff, v3, v2
	v_lshl_or_b32 v10, v10, 9, 0x7c00
	v_lshrrev_b32_e32 v20, 8, v3
	v_bfe_u32 v21, v3, 20, 11
	v_cndmask_b32_e64 v18, v19, v18, s0
	v_cmp_gt_i32_e64 s0, 31, v17
	v_lshrrev_b32_e32 v3, 16, v3
	v_and_b32_e32 v19, 7, v18
	v_cndmask_b32_e64 v16, 0x7c00, v16, s0
	v_cmp_ne_u32_e64 s0, 0, v2
	v_lshrrev_b32_e32 v18, 2, v18
	v_cmp_eq_u32_e64 s1, 3, v19
	v_cndmask_b32_e64 v2, 0, 1, s0
	v_cmp_eq_u32_e64 s0, 0x40f, v17
	s_waitcnt lgkmcnt(0)
	v_lshrrev_b32_e32 v17, 16, v12
	v_mul_f64 v[6:7], v[6:7], s[4:5]
	v_and_or_b32 v2, 0xffe, v20, v2
	v_cndmask_b32_e64 v10, v16, v10, s0
	v_cmp_lt_i32_e64 s0, 5, v19
	v_sub_nc_u32_e32 v16, 0x3f1, v21
	v_mul_f16_sdwa v20, v76, v17 dst_sel:DWORD dst_unused:UNUSED_PAD src0_sel:WORD_1 src1_sel:DWORD
	v_or_b32_e32 v19, 0x1000, v2
	v_and_or_b32 v10, 0x8000, v11, v10
	s_or_b32 s0, s1, s0
	v_med3_i32 v16, v16, 0, 13
	v_add_co_ci_u32_e64 v18, s0, 0, v18, s0
	v_cmp_ne_u32_e64 s0, 0, v8
	v_fmac_f16_e32 v20, v76, v12
	v_lshrrev_b32_e32 v22, v16, v19
	v_and_b32_e32 v10, 0xffff, v10
	v_mul_f16_sdwa v12, v76, v12 dst_sel:DWORD dst_unused:UNUSED_PAD src0_sel:WORD_1 src1_sel:DWORD
	v_cndmask_b32_e64 v8, 0, 1, s0
	v_cmp_gt_i32_e64 s0, 31, v15
	v_lshlrev_b32_e32 v11, v16, v22
	v_cvt_f32_f16_e32 v16, v20
	v_fma_f16 v12, v76, v17, -v12
	v_lshl_or_b32 v8, v8, 9, 0x7c00
	v_cndmask_b32_e64 v18, 0x7c00, v18, s0
	v_cmp_eq_u32_e64 s0, 0x40f, v15
	v_and_or_b32 v6, 0x1ff, v7, v6
	v_bfe_u32 v20, v7, 20, 11
	v_cndmask_b32_e64 v15, v18, v8, s0
	v_cmp_ne_u32_e64 s0, v11, v19
	v_lshrrev_b32_e32 v18, 16, v9
	v_cvt_f64_f32_e32 v[8:9], v16
	v_add_nc_u32_e32 v16, 0xfffffc10, v21
	v_lshrrev_b32_e32 v19, 8, v7
	v_cndmask_b32_e64 v11, 0, 1, s0
	v_cmp_ne_u32_e64 s0, 0, v6
	v_and_or_b32 v15, 0x8000, v18, v15
	v_lshl_or_b32 v18, v16, 12, v2
	v_lshrrev_b32_e32 v7, 16, v7
	v_or_b32_e32 v11, v22, v11
	v_cndmask_b32_e64 v6, 0, 1, s0
	v_cmp_gt_i32_e64 s0, 1, v16
	v_lshl_or_b32 v21, v15, 16, v10
	v_and_or_b32 v6, 0xffe, v19, v6
	v_sub_nc_u32_e32 v19, 0x3f1, v20
	v_cndmask_b32_e64 v11, v18, v11, s0
	v_add_co_u32 v4, s0, v4, s10
	v_or_b32_e32 v18, 0x1000, v6
	v_med3_i32 v19, v19, 0, 13
	v_and_b32_e32 v10, 7, v11
	v_mul_f64 v[8:9], v[8:9], s[4:5]
	v_add_co_ci_u32_e64 v5, s0, s11, v5, s0
	v_lshrrev_b32_e32 v22, v19, v18
	v_cmp_lt_i32_e64 s0, 5, v10
	v_cmp_eq_u32_e64 s1, 3, v10
	v_cvt_f32_f16_e32 v10, v12
	v_lshrrev_b32_e32 v12, 2, v11
	v_lshlrev_b32_e32 v14, v19, v22
	global_store_dword v[4:5], v21, off
	s_or_b32 s0, s1, s0
	v_cvt_f64_f32_e32 v[10:11], v10
	v_add_co_ci_u32_e64 v12, s0, 0, v12, s0
	v_cmp_ne_u32_e64 s2, v14, v18
	v_cmp_ne_u32_e64 s0, 0, v2
	ds_read2_b32 v[14:15], v44 offset0:44 offset1:100
	v_add_nc_u32_e32 v18, 0xfffffc10, v20
	v_cndmask_b32_e64 v17, 0, 1, s2
	v_cndmask_b32_e64 v2, 0, 1, s0
	v_cmp_gt_i32_e64 s0, 31, v16
	v_lshl_or_b32 v19, v18, 12, v6
	v_and_or_b32 v8, 0x1ff, v9, v8
	v_or_b32_e32 v17, v22, v17
	v_lshl_or_b32 v2, v2, 9, 0x7c00
	v_cndmask_b32_e64 v12, 0x7c00, v12, s0
	v_cmp_gt_i32_e64 s0, 1, v18
	v_cndmask_b32_e64 v17, v19, v17, s0
	v_cmp_ne_u32_e64 s0, 0, v8
	v_lshrrev_b32_e32 v19, 8, v9
	v_mul_f64 v[10:11], v[10:11], s[4:5]
	v_and_b32_e32 v20, 7, v17
	v_cndmask_b32_e64 v8, 0, 1, s0
	v_cmp_eq_u32_e64 s0, 0x40f, v16
	s_waitcnt lgkmcnt(0)
	v_lshrrev_b32_e32 v16, 16, v14
	v_cmp_eq_u32_e64 s1, 3, v20
	v_and_or_b32 v8, 0xffe, v19, v8
	v_cndmask_b32_e64 v2, v12, v2, s0
	v_bfe_u32 v12, v9, 20, 11
	v_mul_f16_sdwa v22, v75, v16 dst_sel:DWORD dst_unused:UNUSED_PAD src0_sel:WORD_1 src1_sel:DWORD
	v_cmp_lt_i32_e64 s0, 5, v20
	v_or_b32_e32 v23, 0x1000, v8
	v_and_or_b32 v20, 0x8000, v3, v2
	v_sub_nc_u32_e32 v19, 0x3f1, v12
	v_fmac_f16_e32 v22, v75, v14
	v_lshrrev_b32_e32 v2, 2, v17
	s_or_b32 s0, s1, s0
	v_add_nc_u32_e32 v12, 0xfffffc10, v12
	v_med3_i32 v19, v19, 0, 13
	v_cvt_f32_f16_e32 v3, v22
	v_add_co_ci_u32_e64 v22, s0, 0, v2, s0
	v_cmp_ne_u32_e64 s0, 0, v6
	v_lshrrev_b32_e32 v17, v19, v23
	v_and_or_b32 v10, 0x1ff, v11, v10
	v_cvt_f64_f32_e32 v[2:3], v3
	v_bfe_u32 v28, v11, 20, 11
	v_cndmask_b32_e64 v6, 0, 1, s0
	v_lshlrev_b32_e32 v19, v19, v17
	v_cmp_gt_i32_e64 s0, 31, v18
	v_mul_f16_sdwa v14, v75, v14 dst_sel:DWORD dst_unused:UNUSED_PAD src0_sel:WORD_1 src1_sel:DWORD
	v_lshrrev_b32_e32 v9, 16, v9
	v_lshl_or_b32 v6, v6, 9, 0x7c00
	v_cndmask_b32_e64 v22, 0x7c00, v22, s0
	v_cmp_ne_u32_e64 s0, v19, v23
	v_lshrrev_b32_e32 v23, 8, v11
	v_fma_f16 v14, v75, v16, -v14
	v_lshrrev_b32_e32 v11, 16, v11
	v_cndmask_b32_e64 v19, 0, 1, s0
	v_cmp_ne_u32_e64 s0, 0, v10
	v_or_b32_e32 v17, v17, v19
	v_cndmask_b32_e64 v10, 0, 1, s0
	v_cmp_eq_u32_e64 s0, 0x40f, v18
	v_lshl_or_b32 v18, v12, 12, v8
	v_sub_nc_u32_e32 v19, 0x3f1, v28
	v_mul_f64 v[2:3], v[2:3], s[4:5]
	v_and_or_b32 v10, 0xffe, v23, v10
	v_cndmask_b32_e64 v6, v22, v6, s0
	v_cmp_gt_i32_e64 s0, 1, v12
	v_med3_i32 v19, v19, 0, 13
	v_and_or_b32 v6, 0x8000, v7, v6
	v_cndmask_b32_e64 v17, v18, v17, s0
	v_or_b32_e32 v18, 0x1000, v10
	v_and_b32_e32 v7, 0xffff, v20
	v_and_b32_e32 v22, 7, v17
	v_lshrrev_b32_e32 v20, v19, v18
	v_lshl_or_b32 v16, v6, 16, v7
	v_cvt_f32_f16_e32 v7, v14
	v_lshrrev_b32_e32 v14, 2, v17
	v_cmp_lt_i32_e64 s0, 5, v22
	v_lshlrev_b32_e32 v6, v19, v20
	v_cmp_eq_u32_e64 s1, 3, v22
	v_and_or_b32 v2, 0x1ff, v3, v2
	v_cmp_ne_u32_e64 s2, v6, v18
	s_or_b32 s0, s1, s0
	v_add_nc_u32_e32 v18, 0xfffffc10, v28
	v_add_co_ci_u32_e64 v14, s0, 0, v14, s0
	v_cndmask_b32_e64 v17, 0, 1, s2
	v_cmp_ne_u32_e64 s0, 0, v8
	v_cvt_f64_f32_e32 v[6:7], v7
	v_lshl_or_b32 v19, v18, 12, v10
	v_or_b32_e32 v17, v20, v17
	v_cndmask_b32_e64 v8, 0, 1, s0
	v_cmp_gt_i32_e64 s0, 1, v18
	v_bfe_u32 v20, v3, 20, 11
	v_lshl_or_b32 v8, v8, 9, 0x7c00
	v_cndmask_b32_e64 v17, v19, v17, s0
	v_cmp_ne_u32_e64 s0, 0, v2
	v_lshrrev_b32_e32 v19, 8, v3
	v_and_b32_e32 v21, 7, v17
	v_cndmask_b32_e64 v2, 0, 1, s0
	v_cmp_gt_i32_e64 s0, 31, v12
	v_cmp_eq_u32_e64 s1, 3, v21
	v_and_or_b32 v2, 0xffe, v19, v2
	v_cndmask_b32_e64 v14, 0x7c00, v14, s0
	v_cmp_eq_u32_e64 s0, 0x40f, v12
	v_mul_f64 v[6:7], v[6:7], s[4:5]
	v_sub_nc_u32_e32 v19, 0x3f1, v20
	v_or_b32_e32 v12, 0x1000, v2
	v_cndmask_b32_e64 v8, v14, v8, s0
	v_cmp_lt_i32_e64 s0, 5, v21
	v_med3_i32 v14, v19, 0, 13
	v_and_or_b32 v19, 0x8000, v9, v8
	v_lshrrev_b32_e32 v8, 2, v17
	s_or_b32 s0, s1, s0
	v_lshrrev_b32_e32 v21, v14, v12
	v_lshrrev_b32_e32 v17, 16, v13
	v_and_b32_e32 v19, 0xffff, v19
	v_add_co_ci_u32_e64 v8, s0, 0, v8, s0
	v_cmp_ne_u32_e64 s0, 0, v10
	v_lshlrev_b32_e32 v14, v14, v21
	v_mul_f16_sdwa v9, v74, v17 dst_sel:DWORD dst_unused:UNUSED_PAD src0_sel:WORD_1 src1_sel:DWORD
	v_cndmask_b32_e64 v10, 0, 1, s0
	v_cmp_gt_i32_e64 s0, 31, v18
	v_and_or_b32 v6, 0x1ff, v7, v6
	v_fmac_f16_e32 v9, v74, v13
	v_bfe_u32 v23, v7, 20, 11
	v_lshl_or_b32 v10, v10, 9, 0x7c00
	v_cndmask_b32_e64 v22, 0x7c00, v8, s0
	v_cmp_ne_u32_e64 s0, v14, v12
	v_cvt_f32_f16_e32 v8, v9
	v_add_nc_u32_e32 v14, 0xfffffc10, v20
	v_lshrrev_b32_e32 v20, 8, v7
	v_mul_f16_sdwa v13, v74, v13 dst_sel:DWORD dst_unused:UNUSED_PAD src0_sel:WORD_1 src1_sel:DWORD
	v_cndmask_b32_e64 v12, 0, 1, s0
	v_cmp_ne_u32_e64 s0, 0, v6
	v_cvt_f64_f32_e32 v[8:9], v8
	v_or_b32_e32 v12, v21, v12
	v_cndmask_b32_e64 v6, 0, 1, s0
	v_cmp_eq_u32_e64 s0, 0x40f, v18
	v_lshl_or_b32 v18, v14, 12, v2
	v_and_or_b32 v6, 0xffe, v20, v6
	v_cndmask_b32_e64 v10, v22, v10, s0
	v_sub_nc_u32_e32 v20, 0x3f1, v23
	v_cmp_gt_i32_e64 s0, 1, v14
	v_and_or_b32 v10, 0x8000, v11, v10
	v_med3_i32 v20, v20, 0, 13
	v_cndmask_b32_e64 v12, v18, v12, s0
	v_or_b32_e32 v18, 0x1000, v6
	v_add_co_u32 v4, s0, v4, s6
	v_add_co_ci_u32_e64 v5, s0, s7, v5, s0
	v_lshrrev_b32_e32 v11, v20, v18
	v_and_b32_e32 v21, 7, v12
	v_mul_f64 v[8:9], v[8:9], s[4:5]
	global_store_dword v[4:5], v16, off
	v_lshl_or_b32 v16, v10, 16, v19
	v_lshlrev_b32_e32 v20, v20, v11
	v_fma_f16 v10, v74, v17, -v13
	v_cmp_lt_i32_e64 s0, 5, v21
	v_lshrrev_b32_e32 v12, 2, v12
	v_add_nc_u32_e32 v17, 0xfffffc10, v23
	v_cmp_ne_u32_e64 s1, v20, v18
	v_cvt_f32_f16_e32 v10, v10
	v_lshl_or_b32 v18, v17, 12, v6
	v_cndmask_b32_e64 v13, 0, 1, s1
	v_cmp_eq_u32_e64 s1, 3, v21
	v_or_b32_e32 v13, v11, v13
	s_or_b32 s0, s1, s0
	v_cvt_f64_f32_e32 v[10:11], v10
	v_add_co_ci_u32_e64 v12, s0, 0, v12, s0
	v_cmp_ne_u32_e64 s0, 0, v2
	v_and_or_b32 v8, 0x1ff, v9, v8
	v_lshrrev_b32_e32 v19, 8, v9
	v_bfe_u32 v20, v9, 20, 11
	v_cndmask_b32_e64 v2, 0, 1, s0
	v_cmp_gt_i32_e64 s0, 1, v17
	v_lshl_or_b32 v2, v2, 9, 0x7c00
	v_cndmask_b32_e64 v13, v18, v13, s0
	v_cmp_gt_i32_e64 s0, 31, v14
	v_and_b32_e32 v18, 7, v13
	v_cndmask_b32_e64 v12, 0x7c00, v12, s0
	v_cmp_ne_u32_e64 s0, 0, v8
	v_cmp_eq_u32_e64 s1, 3, v18
	v_cndmask_b32_e64 v8, 0, 1, s0
	v_cmp_eq_u32_e64 s0, 0x40f, v14
	v_lshrrev_b32_e32 v14, 16, v3
	v_and_or_b32 v8, 0xffe, v19, v8
	v_cndmask_b32_e64 v12, v12, v2, s0
	v_cmp_lt_i32_e64 s0, 5, v18
	v_mul_f64 v[2:3], v[10:11], s[4:5]
	v_lshrrev_b32_e32 v10, 2, v13
	v_sub_nc_u32_e32 v19, 0x3f1, v20
	v_or_b32_e32 v11, 0x1000, v8
	s_or_b32 s0, s1, s0
	v_lshrrev_b32_e32 v18, 16, v15
	v_add_co_ci_u32_e64 v10, s0, 0, v10, s0
	v_med3_i32 v13, v19, 0, 13
	v_cmp_ne_u32_e64 s0, 0, v6
	v_mul_f16_sdwa v21, v73, v18 dst_sel:DWORD dst_unused:UNUSED_PAD src0_sel:WORD_1 src1_sel:DWORD
	v_and_or_b32 v12, 0x8000, v14, v12
	v_lshrrev_b32_e32 v14, 16, v7
	v_lshrrev_b32_e32 v19, v13, v11
	v_cndmask_b32_e64 v6, 0, 1, s0
	v_cmp_gt_i32_e64 s0, 31, v17
	v_fmac_f16_e32 v21, v73, v15
	v_and_b32_e32 v12, 0xffff, v12
	v_lshlrev_b32_e32 v13, v13, v19
	v_lshl_or_b32 v6, v6, 9, 0x7c00
	v_cndmask_b32_e64 v10, 0x7c00, v10, s0
	v_cmp_eq_u32_e64 s0, 0x40f, v17
	v_and_or_b32 v2, 0x1ff, v3, v2
	v_add_nc_u32_e32 v17, 0xfffffc10, v20
	v_bfe_u32 v20, v3, 20, 11
	v_mul_f16_sdwa v15, v73, v15 dst_sel:DWORD dst_unused:UNUSED_PAD src0_sel:WORD_1 src1_sel:DWORD
	v_cndmask_b32_e64 v10, v10, v6, s0
	v_cmp_ne_u32_e64 s0, v13, v11
	v_cvt_f32_f16_e32 v6, v21
	v_lshrrev_b32_e32 v13, 8, v3
	v_and_or_b32 v10, 0x8000, v14, v10
	v_cndmask_b32_e64 v11, 0, 1, s0
	v_cmp_ne_u32_e64 s0, 0, v2
	v_cvt_f64_f32_e32 v[6:7], v6
	v_lshl_or_b32 v14, v17, 12, v8
	v_lshl_or_b32 v21, v10, 16, v12
	v_or_b32_e32 v11, v19, v11
	v_cndmask_b32_e64 v2, 0, 1, s0
	v_cmp_gt_i32_e64 s0, 1, v17
	v_and_or_b32 v2, 0xffe, v13, v2
	v_sub_nc_u32_e32 v13, 0x3f1, v20
	v_cndmask_b32_e64 v14, v14, v11, s0
	v_add_co_u32 v4, s0, v4, s10
	v_or_b32_e32 v19, 0x1000, v2
	v_med3_i32 v13, v13, 0, 13
	v_add_co_ci_u32_e64 v5, s0, s11, v5, s0
	v_and_b32_e32 v12, 7, v14
	v_add_co_u32 v10, s0, v4, s6
	v_lshrrev_b32_e32 v22, v13, v19
	v_mul_f64 v[6:7], v[6:7], s[4:5]
	v_add_co_ci_u32_e64 v11, s0, s7, v5, s0
	v_cmp_lt_i32_e64 s0, 5, v12
	v_lshlrev_b32_e32 v13, v13, v22
	v_cmp_eq_u32_e64 s1, 3, v12
	v_fma_f16 v12, v73, v18, -v15
	v_lshrrev_b32_e32 v14, 2, v14
	v_add_nc_u32_e32 v18, 0xfffffc10, v20
	v_cmp_ne_u32_e64 s2, v13, v19
	s_or_b32 s0, s1, s0
	v_cvt_f32_f16_e32 v12, v12
	v_add_co_ci_u32_e64 v19, s0, 0, v14, s0
	v_cndmask_b32_e64 v13, 0, 1, s2
	v_cmp_ne_u32_e64 s0, 0, v8
	ds_read2_b32 v[14:15], v43 offset0:80 offset1:136
	global_store_dword v[4:5], v16, off
	global_store_dword v[10:11], v21, off
	v_or_b32_e32 v20, v22, v13
	v_cvt_f64_f32_e32 v[12:13], v12
	v_lshl_or_b32 v22, v18, 12, v2
	v_cndmask_b32_e64 v8, 0, 1, s0
	v_cmp_gt_i32_e64 s0, 1, v18
	v_and_or_b32 v6, 0x1ff, v7, v6
	v_lshrrev_b32_e32 v23, 8, v7
	v_bfe_u32 v28, v7, 20, 11
	v_lshl_or_b32 v8, v8, 9, 0x7c00
	v_cndmask_b32_e64 v20, v22, v20, s0
	v_cmp_gt_i32_e64 s0, 31, v17
	v_and_b32_e32 v22, 7, v20
	v_cndmask_b32_e64 v19, 0x7c00, v19, s0
	v_cmp_ne_u32_e64 s0, 0, v6
	v_cmp_eq_u32_e64 s1, 3, v22
	v_cndmask_b32_e64 v6, 0, 1, s0
	v_cmp_eq_u32_e64 s0, 0x40f, v17
	v_and_or_b32 v6, 0xffe, v23, v6
	v_cndmask_b32_e64 v17, v19, v8, s0
	v_cmp_lt_i32_e64 s0, 5, v22
	v_lshrrev_b32_e32 v19, 16, v9
	v_mul_f64 v[8:9], v[12:13], s[4:5]
	v_lshrrev_b32_e32 v13, 2, v20
	v_sub_nc_u32_e32 v23, 0x3f1, v28
	s_or_b32 s0, s1, s0
	v_or_b32_e32 v20, 0x1000, v6
	s_waitcnt lgkmcnt(0)
	v_lshrrev_b32_e32 v12, 16, v14
	v_add_co_ci_u32_e64 v13, s0, 0, v13, s0
	v_med3_i32 v22, v23, 0, 13
	v_cmp_ne_u32_e64 s0, 0, v2
	v_mul_f16_sdwa v23, v72, v12 dst_sel:DWORD dst_unused:UNUSED_PAD src0_sel:WORD_1 src1_sel:DWORD
	v_and_or_b32 v17, 0x8000, v19, v17
	v_lshrrev_b32_e32 v29, v22, v20
	v_cndmask_b32_e64 v2, 0, 1, s0
	v_cmp_gt_i32_e64 s0, 31, v18
	v_fmac_f16_e32 v23, v72, v14
	v_and_b32_e32 v17, 0xffff, v17
	v_lshlrev_b32_e32 v19, v22, v29
	v_lshl_or_b32 v2, v2, 9, 0x7c00
	v_cndmask_b32_e64 v13, 0x7c00, v13, s0
	v_cmp_eq_u32_e64 s0, 0x40f, v18
	v_and_or_b32 v8, 0x1ff, v9, v8
	v_cvt_f32_f16_e32 v22, v23
	v_lshrrev_b32_e32 v18, 16, v3
	v_bfe_u32 v23, v9, 20, 11
	v_cndmask_b32_e64 v13, v13, v2, s0
	v_cmp_ne_u32_e64 s0, v19, v20
	v_cvt_f64_f32_e32 v[2:3], v22
	v_add_nc_u32_e32 v20, 0xfffffc10, v28
	v_lshrrev_b32_e32 v22, 8, v9
	v_and_or_b32 v13, 0x8000, v18, v13
	v_cndmask_b32_e64 v19, 0, 1, s0
	v_cmp_ne_u32_e64 s0, 0, v8
	v_mul_f16_sdwa v14, v72, v14 dst_sel:DWORD dst_unused:UNUSED_PAD src0_sel:WORD_1 src1_sel:DWORD
	v_lshrrev_b32_e32 v9, 16, v9
	v_lshl_or_b32 v16, v13, 16, v17
	v_or_b32_e32 v18, v29, v19
	v_cndmask_b32_e64 v8, 0, 1, s0
	v_lshl_or_b32 v19, v20, 12, v6
	v_cmp_gt_i32_e64 s0, 1, v20
	v_and_or_b32 v8, 0xffe, v22, v8
	v_sub_nc_u32_e32 v22, 0x3f1, v23
	v_cndmask_b32_e64 v18, v19, v18, s0
	v_add_co_u32 v4, s0, v10, s10
	v_or_b32_e32 v19, 0x1000, v8
	v_med3_i32 v22, v22, 0, 13
	v_and_b32_e32 v13, 7, v18
	v_mul_f64 v[2:3], v[2:3], s[4:5]
	v_add_co_ci_u32_e64 v5, s0, s11, v11, s0
	v_lshrrev_b32_e32 v17, v22, v19
	v_cmp_lt_i32_e64 s0, 5, v13
	v_cmp_eq_u32_e64 s1, 3, v13
	v_fma_f16 v11, v72, v12, -v14
	v_lshrrev_b32_e32 v12, 2, v18
	v_lshlrev_b32_e32 v10, v22, v17
	v_add_nc_u32_e32 v14, 0xfffffc10, v23
	s_or_b32 s0, s1, s0
	v_cvt_f32_f16_e32 v11, v11
	v_add_co_ci_u32_e64 v18, s0, 0, v12, s0
	v_cmp_ne_u32_e64 s2, v10, v19
	v_cmp_ne_u32_e64 s0, 0, v6
	v_lshl_or_b32 v19, v14, 12, v8
	ds_read2_b32 v[12:13], v44 offset0:156 offset1:212
	global_store_dword v[4:5], v16, off
	v_cndmask_b32_e64 v10, 0, 1, s2
	v_cndmask_b32_e64 v6, 0, 1, s0
	v_cmp_gt_i32_e64 s0, 1, v14
	v_and_or_b32 v2, 0x1ff, v3, v2
	v_lshrrev_b32_e32 v21, 8, v3
	v_or_b32_e32 v17, v17, v10
	v_cvt_f64_f32_e32 v[10:11], v11
	v_lshl_or_b32 v6, v6, 9, 0x7c00
	v_bfe_u32 v22, v3, 20, 11
	v_cndmask_b32_e64 v17, v19, v17, s0
	v_cmp_gt_i32_e64 s0, 31, v20
	v_and_b32_e32 v19, 7, v17
	v_cndmask_b32_e64 v18, 0x7c00, v18, s0
	v_cmp_ne_u32_e64 s0, 0, v2
	s_waitcnt lgkmcnt(0)
	v_lshrrev_b32_e32 v23, 16, v12
	v_cmp_eq_u32_e64 s1, 3, v19
	v_cndmask_b32_e64 v2, 0, 1, s0
	v_cmp_eq_u32_e64 s0, 0x40f, v20
	v_lshrrev_b32_e32 v20, 16, v7
	v_and_or_b32 v2, 0xffe, v21, v2
	v_cndmask_b32_e64 v18, v18, v6, s0
	v_cmp_lt_i32_e64 s0, 5, v19
	v_mul_f64 v[6:7], v[10:11], s[4:5]
	v_lshrrev_b32_e32 v10, 2, v17
	v_sub_nc_u32_e32 v21, 0x3f1, v22
	v_or_b32_e32 v17, 0x1000, v2
	s_or_b32 s0, s1, s0
	v_mul_f16_sdwa v19, v71, v23 dst_sel:DWORD dst_unused:UNUSED_PAD src0_sel:WORD_1 src1_sel:DWORD
	v_add_co_ci_u32_e64 v10, s0, 0, v10, s0
	v_med3_i32 v11, v21, 0, 13
	v_cmp_ne_u32_e64 s0, 0, v8
	v_fmac_f16_e32 v19, v71, v12
	v_and_or_b32 v18, 0x8000, v20, v18
	v_lshrrev_b32_e32 v21, v11, v17
	v_cndmask_b32_e64 v8, 0, 1, s0
	v_cmp_gt_i32_e64 s0, 31, v14
	v_cvt_f32_f16_e32 v19, v19
	v_and_b32_e32 v18, 0xffff, v18
	v_lshlrev_b32_e32 v20, v11, v21
	v_lshl_or_b32 v8, v8, 9, 0x7c00
	v_cndmask_b32_e64 v10, 0x7c00, v10, s0
	v_cmp_eq_u32_e64 s0, 0x40f, v14
	v_and_or_b32 v6, 0x1ff, v7, v6
	v_cndmask_b32_e64 v8, v10, v8, s0
	v_cmp_ne_u32_e64 s0, v20, v17
	v_cvt_f64_f32_e32 v[10:11], v19
	v_lshrrev_b32_e32 v19, 8, v7
	v_bfe_u32 v20, v7, 20, 11
	v_add_nc_u32_e32 v17, 0xfffffc10, v22
	v_cndmask_b32_e64 v14, 0, 1, s0
	v_cmp_ne_u32_e64 s0, 0, v6
	v_and_or_b32 v8, 0x8000, v9, v8
	v_lshrrev_b32_e32 v7, 16, v7
	v_or_b32_e32 v9, v21, v14
	v_cndmask_b32_e64 v6, 0, 1, s0
	v_lshl_or_b32 v14, v17, 12, v2
	v_cmp_gt_i32_e64 s0, 1, v17
	v_lshl_or_b32 v16, v8, 16, v18
	v_and_or_b32 v6, 0xffe, v19, v6
	v_sub_nc_u32_e32 v19, 0x3f1, v20
	v_cndmask_b32_e64 v14, v14, v9, s0
	v_add_co_u32 v4, s0, v4, s6
	v_or_b32_e32 v21, 0x1000, v6
	v_med3_i32 v19, v19, 0, 13
	v_mul_f64 v[8:9], v[10:11], s[4:5]
	v_and_b32_e32 v18, 7, v14
	v_mul_f16_sdwa v11, v71, v12 dst_sel:DWORD dst_unused:UNUSED_PAD src0_sel:WORD_1 src1_sel:DWORD
	v_add_co_ci_u32_e64 v5, s0, s7, v5, s0
	v_lshrrev_b32_e32 v10, v19, v21
	v_cmp_lt_i32_e64 s0, 5, v18
	v_cmp_eq_u32_e64 s1, 3, v18
	v_fma_f16 v11, v71, v23, -v11
	v_lshrrev_b32_e32 v14, 2, v14
	v_lshlrev_b32_e32 v12, v19, v10
	v_add_nc_u32_e32 v18, 0xfffffc10, v20
	s_or_b32 s0, s1, s0
	v_cvt_f32_f16_e32 v11, v11
	v_add_co_ci_u32_e64 v14, s0, 0, v14, s0
	v_cmp_ne_u32_e64 s2, v12, v21
	v_cmp_ne_u32_e64 s0, 0, v2
	v_lshl_or_b32 v19, v18, 12, v6
	global_store_dword v[4:5], v16, off
	v_cndmask_b32_e64 v12, 0, 1, s2
	v_and_or_b32 v8, 0x1ff, v9, v8
	v_cndmask_b32_e64 v2, 0, 1, s0
	v_cmp_gt_i32_e64 s0, 1, v18
	v_bfe_u32 v20, v9, 20, 11
	v_or_b32_e32 v12, v10, v12
	v_cvt_f64_f32_e32 v[10:11], v11
	v_lshl_or_b32 v2, v2, 9, 0x7c00
	v_add_co_u32 v4, s2, v4, s10
	v_cndmask_b32_e64 v12, v19, v12, s0
	v_cmp_ne_u32_e64 s0, 0, v8
	v_lshrrev_b32_e32 v19, 8, v9
	v_add_co_ci_u32_e64 v5, s2, s11, v5, s2
	v_and_b32_e32 v21, 7, v12
	v_cndmask_b32_e64 v8, 0, 1, s0
	v_cmp_gt_i32_e64 s0, 31, v17
	v_cmp_eq_u32_e64 s1, 3, v21
	v_and_or_b32 v8, 0xffe, v19, v8
	v_cndmask_b32_e64 v14, 0x7c00, v14, s0
	v_cmp_eq_u32_e64 s0, 0x40f, v17
	v_sub_nc_u32_e32 v17, 0x3f1, v20
	v_lshrrev_b32_e32 v19, 16, v3
	v_or_b32_e32 v22, 0x1000, v8
	v_add_nc_u32_e32 v20, 0xfffffc10, v20
	v_cndmask_b32_e64 v14, v14, v2, s0
	v_cmp_lt_i32_e64 s0, 5, v21
	v_mul_f64 v[2:3], v[10:11], s[4:5]
	v_lshrrev_b32_e32 v11, 2, v12
	v_med3_i32 v10, v17, 0, 13
	v_lshrrev_b32_e32 v17, 16, v15
	s_or_b32 s0, s1, s0
	v_and_or_b32 v14, 0x8000, v19, v14
	v_add_co_ci_u32_e64 v11, s0, 0, v11, s0
	v_lshrrev_b32_e32 v12, v10, v22
	v_cmp_ne_u32_e64 s0, 0, v6
	v_mul_f16_sdwa v19, v70, v17 dst_sel:DWORD dst_unused:UNUSED_PAD src0_sel:WORD_1 src1_sel:DWORD
	v_and_b32_e32 v14, 0xffff, v14
	v_lshlrev_b32_e32 v10, v10, v12
	v_cndmask_b32_e64 v6, 0, 1, s0
	v_cmp_gt_i32_e64 s0, 31, v18
	v_fmac_f16_e32 v19, v70, v15
	v_lshl_or_b32 v6, v6, 9, 0x7c00
	v_cndmask_b32_e64 v21, 0x7c00, v11, s0
	v_cmp_ne_u32_e64 s0, v10, v22
	v_cvt_f32_f16_e32 v11, v19
	v_and_or_b32 v2, 0x1ff, v3, v2
	v_cndmask_b32_e64 v19, 0, 1, s0
	v_cmp_eq_u32_e64 s0, 0x40f, v18
	v_cvt_f64_f32_e32 v[10:11], v11
	v_lshl_or_b32 v18, v20, 12, v8
	v_or_b32_e32 v12, v12, v19
	v_cndmask_b32_e64 v6, v21, v6, s0
	v_cmp_ne_u32_e64 s0, 0, v2
	v_lshrrev_b32_e32 v19, 8, v3
	v_bfe_u32 v21, v3, 20, 11
	v_lshrrev_b32_e32 v3, 16, v3
	v_and_or_b32 v6, 0x8000, v7, v6
	v_cndmask_b32_e64 v2, 0, 1, s0
	v_cmp_gt_i32_e64 s0, 1, v20
	v_sub_nc_u32_e32 v7, 0x3f1, v21
	v_lshl_or_b32 v14, v6, 16, v14
	v_and_or_b32 v2, 0xffe, v19, v2
	v_cndmask_b32_e64 v12, v18, v12, s0
	v_med3_i32 v19, v7, 0, 13
	global_store_dword v[4:5], v14, off
	v_or_b32_e32 v16, 0x1000, v2
	v_and_b32_e32 v18, 7, v12
	v_mul_f64 v[6:7], v[10:11], s[4:5]
	v_lshrrev_b32_e32 v11, 2, v12
	v_mul_f16_sdwa v10, v70, v15 dst_sel:DWORD dst_unused:UNUSED_PAD src0_sel:WORD_1 src1_sel:DWORD
	v_add_co_u32 v4, s2, v4, s6
	v_cmp_lt_i32_e64 s0, 5, v18
	v_cmp_eq_u32_e64 s1, 3, v18
	v_lshrrev_b32_e32 v18, v19, v16
	v_fma_f16 v10, v70, v17, -v10
	v_add_co_ci_u32_e64 v5, s2, s7, v5, s2
	s_or_b32 s0, s1, s0
	v_lshlrev_b32_e32 v12, v19, v18
	v_add_co_ci_u32_e64 v15, s0, 0, v11, s0
	v_cvt_f32_f16_e32 v10, v10
	v_cmp_ne_u32_e64 s0, v12, v16
	v_add_nc_u32_e32 v16, 0xfffffc10, v21
	v_lshrrev_b32_e32 v21, 16, v13
	v_cvt_f64_f32_e32 v[10:11], v10
	v_cndmask_b32_e64 v12, 0, 1, s0
	v_cmp_ne_u32_e64 s0, 0, v8
	v_lshl_or_b32 v17, v16, 12, v2
	v_and_or_b32 v6, 0x1ff, v7, v6
	v_or_b32_e32 v12, v18, v12
	v_cndmask_b32_e64 v8, 0, 1, s0
	v_cmp_gt_i32_e64 s0, 31, v20
	v_bfe_u32 v18, v7, 20, 11
	v_lshl_or_b32 v8, v8, 9, 0x7c00
	v_cndmask_b32_e64 v15, 0x7c00, v15, s0
	v_cmp_gt_i32_e64 s0, 1, v16
	v_cndmask_b32_e64 v12, v17, v12, s0
	v_cmp_ne_u32_e64 s0, 0, v6
	v_lshrrev_b32_e32 v17, 8, v7
	v_and_b32_e32 v19, 7, v12
	v_cndmask_b32_e64 v6, 0, 1, s0
	v_cmp_eq_u32_e64 s0, 0x40f, v20
	v_sub_nc_u32_e32 v20, 0x3f1, v18
	v_lshrrev_b32_e32 v12, 2, v12
	v_cmp_eq_u32_e64 s1, 3, v19
	v_and_or_b32 v6, 0xffe, v17, v6
	v_cndmask_b32_e64 v15, v15, v8, s0
	v_cmp_lt_i32_e64 s0, 5, v19
	v_lshrrev_b32_e32 v17, 16, v9
	v_mul_f64 v[8:9], v[10:11], s[4:5]
	v_or_b32_e32 v22, 0x1000, v6
	v_med3_i32 v10, v20, 0, 13
	v_mul_f16_sdwa v11, v69, v21 dst_sel:DWORD dst_unused:UNUSED_PAD src0_sel:WORD_1 src1_sel:DWORD
	s_or_b32 s0, s1, s0
	v_and_or_b32 v15, 0x8000, v17, v15
	v_add_co_ci_u32_e64 v12, s0, 0, v12, s0
	v_lshrrev_b32_e32 v17, v10, v22
	v_cmp_ne_u32_e64 s0, 0, v2
	v_fmac_f16_e32 v11, v69, v13
	v_add_nc_u32_e32 v18, 0xfffffc10, v18
	v_and_b32_e32 v15, 0xffff, v15
	v_lshlrev_b32_e32 v19, v10, v17
	v_cndmask_b32_e64 v2, 0, 1, s0
	v_cmp_gt_i32_e64 s0, 31, v16
	v_cvt_f32_f16_e32 v11, v11
	v_lshl_or_b32 v2, v2, 9, 0x7c00
	v_cndmask_b32_e64 v12, 0x7c00, v12, s0
	v_cmp_ne_u32_e64 s0, v19, v22
	v_cvt_f64_f32_e32 v[10:11], v11
	v_and_or_b32 v8, 0x1ff, v9, v8
	v_cndmask_b32_e64 v19, 0, 1, s0
	v_cmp_eq_u32_e64 s0, 0x40f, v16
	v_lshl_or_b32 v16, v18, 12, v6
	v_cndmask_b32_e64 v2, v12, v2, s0
	v_cmp_ne_u32_e64 s0, 0, v8
	v_or_b32_e32 v12, v17, v19
	v_lshrrev_b32_e32 v17, 8, v9
	v_bfe_u32 v19, v9, 20, 11
	v_cndmask_b32_e64 v8, 0, 1, s0
	v_cmp_gt_i32_e64 s0, 1, v18
	v_and_or_b32 v8, 0xffe, v17, v8
	v_sub_nc_u32_e32 v17, 0x3f1, v19
	v_cndmask_b32_e64 v12, v16, v12, s0
	v_and_or_b32 v16, 0x8000, v3, v2
	v_mul_f64 v[2:3], v[10:11], s[4:5]
	v_or_b32_e32 v22, 0x1000, v8
	v_med3_i32 v10, v17, 0, 13
	v_and_b32_e32 v20, 7, v12
	v_lshl_or_b32 v14, v16, 16, v15
	v_lshrrev_b32_e32 v12, 2, v12
	v_mul_f16_sdwa v11, v69, v13 dst_sel:DWORD dst_unused:UNUSED_PAD src0_sel:WORD_1 src1_sel:DWORD
	v_lshrrev_b32_e32 v15, v10, v22
	v_cmp_lt_i32_e64 s0, 5, v20
	v_cmp_eq_u32_e64 s1, 3, v20
	v_add_nc_u32_e32 v16, 0xfffffc10, v19
	v_fma_f16 v11, v69, v21, -v11
	v_lshlrev_b32_e32 v10, v10, v15
	global_store_dword v[4:5], v14, off
	s_or_b32 s0, s1, s0
	v_add_co_ci_u32_e64 v12, s0, 0, v12, s0
	v_cmp_ne_u32_e64 s0, v10, v22
	v_cvt_f32_f16_e32 v10, v11
	v_and_or_b32 v2, 0x1ff, v3, v2
	v_cndmask_b32_e64 v13, 0, 1, s0
	v_cmp_gt_i32_e64 s0, 31, v18
	v_cvt_f64_f32_e32 v[10:11], v10
	v_bfe_u32 v19, v3, 20, 11
	v_cndmask_b32_e64 v17, 0x7c00, v12, s0
	v_cmp_ne_u32_e64 s0, 0, v2
	v_or_b32_e32 v12, v15, v13
	v_lshl_or_b32 v13, v16, 12, v8
	v_lshrrev_b32_e32 v15, 8, v3
	v_cndmask_b32_e64 v2, 0, 1, s0
	v_cmp_ne_u32_e64 s0, 0, v6
	v_and_or_b32 v2, 0xffe, v15, v2
	v_cndmask_b32_e64 v6, 0, 1, s0
	v_cmp_gt_i32_e64 s0, 1, v16
	v_sub_nc_u32_e32 v15, 0x3f1, v19
	v_or_b32_e32 v22, 0x1000, v2
	v_lshl_or_b32 v6, v6, 9, 0x7c00
	v_cndmask_b32_e64 v20, v13, v12, s0
	v_cmp_eq_u32_e64 s0, 0x40f, v18
	v_med3_i32 v15, v15, 0, 13
	v_lshrrev_b32_e32 v18, 16, v7
	ds_read2_b32 v[12:13], v43 offset0:192 offset1:248
	v_and_b32_e32 v21, 7, v20
	v_cndmask_b32_e64 v17, v17, v6, s0
	v_mul_f64 v[6:7], v[10:11], s[4:5]
	v_lshrrev_b32_e32 v11, 2, v20
	v_lshrrev_b32_e32 v10, v15, v22
	v_cmp_lt_i32_e64 s0, 5, v21
	v_cmp_eq_u32_e64 s1, 3, v21
	v_and_or_b32 v14, 0x8000, v18, v17
	v_add_nc_u32_e32 v18, 0xfffffc10, v19
	v_lshlrev_b32_e32 v15, v15, v10
	s_or_b32 s0, s1, s0
	v_and_b32_e32 v14, 0xffff, v14
	v_add_co_ci_u32_e64 v11, s0, 0, v11, s0
	v_cmp_ne_u32_e64 s0, 0, v8
	s_waitcnt lgkmcnt(0)
	v_lshrrev_b32_e32 v17, 16, v12
	v_cndmask_b32_e64 v8, 0, 1, s0
	v_cmp_ne_u32_e64 s0, v15, v22
	v_and_or_b32 v6, 0x1ff, v7, v6
	v_lshl_or_b32 v8, v8, 9, 0x7c00
	v_cndmask_b32_e64 v15, 0, 1, s0
	v_cmp_gt_i32_e64 s0, 31, v16
	v_mul_f16_sdwa v19, v68, v17 dst_sel:DWORD dst_unused:UNUSED_PAD src0_sel:WORD_1 src1_sel:DWORD
	v_or_b32_e32 v10, v10, v15
	v_cndmask_b32_e64 v11, 0x7c00, v11, s0
	v_cmp_eq_u32_e64 s0, 0x40f, v16
	v_lshl_or_b32 v15, v18, 12, v2
	v_fmac_f16_e32 v19, v68, v12
	v_bfe_u32 v16, v7, 20, 11
	v_mul_f16_sdwa v12, v68, v12 dst_sel:DWORD dst_unused:UNUSED_PAD src0_sel:WORD_1 src1_sel:DWORD
	v_cndmask_b32_e64 v11, v11, v8, s0
	v_cmp_gt_i32_e64 s0, 1, v18
	v_cvt_f32_f16_e32 v8, v19
	v_lshrrev_b32_e32 v19, 16, v9
	v_fma_f16 v12, v68, v17, -v12
	v_cndmask_b32_e64 v10, v15, v10, s0
	v_cmp_ne_u32_e64 s0, 0, v6
	v_lshrrev_b32_e32 v15, 8, v7
	v_cvt_f64_f32_e32 v[8:9], v8
	v_and_or_b32 v19, 0x8000, v19, v11
	v_and_b32_e32 v20, 7, v10
	v_cndmask_b32_e64 v6, 0, 1, s0
	v_lshrrev_b32_e32 v10, 2, v10
	v_cvt_f32_f16_e32 v12, v12
	v_lshl_or_b32 v14, v19, 16, v14
	v_cmp_lt_i32_e64 s0, 5, v20
	v_and_or_b32 v6, 0xffe, v15, v6
	v_sub_nc_u32_e32 v15, 0x3f1, v16
	v_cmp_eq_u32_e64 s1, 3, v20
	v_add_nc_u32_e32 v16, 0xfffffc10, v16
	v_lshrrev_b32_e32 v7, 16, v7
	v_or_b32_e32 v21, 0x1000, v6
	v_med3_i32 v11, v15, 0, 13
	s_or_b32 s0, s1, s0
	v_add_co_ci_u32_e64 v17, s0, 0, v10, s0
	v_lshrrev_b32_e32 v15, v11, v21
	v_cmp_ne_u32_e64 s0, 0, v2
	v_mul_f64 v[8:9], v[8:9], s[4:5]
	v_lshlrev_b32_e32 v20, v11, v15
	v_cndmask_b32_e64 v2, 0, 1, s0
	v_cvt_f64_f32_e32 v[10:11], v12
	v_cmp_ne_u32_e64 s0, v20, v21
	v_lshl_or_b32 v2, v2, 9, 0x7c00
	v_cndmask_b32_e64 v12, 0, 1, s0
	v_cmp_gt_i32_e64 s0, 31, v18
	v_or_b32_e32 v12, v15, v12
	v_cndmask_b32_e64 v17, 0x7c00, v17, s0
	v_cmp_eq_u32_e64 s0, 0x40f, v18
	v_lshl_or_b32 v15, v16, 12, v6
	v_lshrrev_b32_e32 v18, 16, v3
	v_and_or_b32 v8, 0x1ff, v9, v8
	v_cndmask_b32_e64 v17, v17, v2, s0
	v_cmp_gt_i32_e64 s0, 1, v16
	v_cmp_ne_u32_e64 s2, 0, v8
	v_and_or_b32 v17, 0x8000, v18, v17
	v_cndmask_b32_e64 v12, v15, v12, s0
	v_add_co_u32 v2, s0, v4, s10
	v_add_co_ci_u32_e64 v3, s0, s11, v5, s0
	v_and_b32_e32 v15, 7, v12
	v_mul_f64 v[4:5], v[10:11], s[4:5]
	v_add_nc_u32_e32 v10, 0x1000, v63
	v_lshrrev_b32_e32 v12, 2, v12
	v_cndmask_b32_e64 v8, 0, 1, s2
	v_cmp_lt_i32_e64 s0, 5, v15
	v_cmp_eq_u32_e64 s1, 3, v15
	ds_read2_b32 v[10:11], v10 offset0:12 offset1:68
	v_lshrrev_b32_e32 v15, 8, v9
	v_bfe_u32 v18, v9, 20, 11
	global_store_dword v[2:3], v14, off
	s_or_b32 s0, s1, s0
	v_and_b32_e32 v17, 0xffff, v17
	v_add_co_ci_u32_e64 v12, s0, 0, v12, s0
	v_cmp_ne_u32_e64 s0, 0, v6
	v_and_or_b32 v8, 0xffe, v15, v8
	v_sub_nc_u32_e32 v15, 0x3f1, v18
	v_add_nc_u32_e32 v18, 0xfffffc10, v18
	v_cndmask_b32_e64 v6, 0, 1, s0
	v_cmp_gt_i32_e64 s0, 31, v16
	v_or_b32_e32 v19, 0x1000, v8
	v_med3_i32 v15, v15, 0, 13
	v_and_or_b32 v4, 0x1ff, v5, v4
	v_lshl_or_b32 v6, v6, 9, 0x7c00
	v_cndmask_b32_e64 v12, 0x7c00, v12, s0
	v_cmp_eq_u32_e64 s0, 0x40f, v16
	v_lshrrev_b32_e32 v16, v15, v19
	v_lshrrev_b32_e32 v20, 8, v5
	v_bfe_u32 v22, v5, 20, 11
	v_lshrrev_b32_e32 v5, 16, v5
	v_cndmask_b32_e64 v6, v12, v6, s0
	s_waitcnt lgkmcnt(0)
	v_lshrrev_b32_e32 v12, 16, v10
	v_cmp_ne_u32_e64 s0, 0, v4
	v_lshlrev_b32_e32 v15, v15, v16
	v_and_or_b32 v23, 0x8000, v7, v6
	v_mul_f16_sdwa v21, v67, v12 dst_sel:DWORD dst_unused:UNUSED_PAD src0_sel:WORD_1 src1_sel:DWORD
	v_cndmask_b32_e64 v4, 0, 1, s0
	v_sub_nc_u32_e32 v6, 0x3f1, v22
	v_cmp_ne_u32_e64 s0, v15, v19
	v_lshl_or_b32 v17, v23, 16, v17
	v_fmac_f16_e32 v21, v67, v10
	v_and_or_b32 v4, 0xffe, v20, v4
	v_med3_i32 v20, v6, 0, 13
	v_cndmask_b32_e64 v7, 0, 1, s0
	v_cmp_gt_i32_e64 s0, 1, v18
	v_cvt_f32_f16_e32 v15, v21
	v_or_b32_e32 v19, 0x1000, v4
	v_mul_f16_sdwa v10, v67, v10 dst_sel:DWORD dst_unused:UNUSED_PAD src0_sel:WORD_1 src1_sel:DWORD
	v_or_b32_e32 v16, v16, v7
	v_cvt_f64_f32_e32 v[6:7], v15
	v_lshl_or_b32 v15, v18, 12, v8
	v_lshrrev_b32_e32 v21, v20, v19
	v_fma_f16 v10, v67, v12, -v10
	v_cndmask_b32_e64 v14, v15, v16, s0
	v_lshlrev_b32_e32 v15, v20, v21
	v_add_co_u32 v2, s0, v2, s6
	v_add_co_ci_u32_e64 v3, s0, s7, v3, s0
	v_and_b32_e32 v16, 7, v14
	v_cmp_ne_u32_e64 s0, v15, v19
	v_add_nc_u32_e32 v19, 0xfffffc10, v22
	v_lshrrev_b32_e32 v12, 2, v14
	v_cvt_f32_f16_e32 v10, v10
	v_cmp_eq_u32_e64 s1, 3, v16
	v_cndmask_b32_e64 v15, 0, 1, s0
	v_cmp_lt_i32_e64 s0, 5, v16
	v_lshl_or_b32 v16, v19, 12, v4
	v_cmp_gt_i32_e64 s2, 1, v19
	v_mul_f64 v[6:7], v[6:7], s[4:5]
	v_or_b32_e32 v15, v21, v15
	s_or_b32 s0, s1, s0
	global_store_dword v[2:3], v17, off
	v_add_co_ci_u32_e64 v12, s0, 0, v12, s0
	v_cmp_ne_u32_e64 s0, 0, v8
	v_cndmask_b32_e64 v16, v16, v15, s2
	v_cvt_f64_f32_e32 v[14:15], v10
	v_cmp_eq_u32_e64 s2, 0x40f, v18
	v_mad_u64_u32 v[2:3], null, 0xe0, s8, v[2:3]
	v_cndmask_b32_e64 v8, 0, 1, s0
	v_cmp_gt_i32_e64 s0, 31, v18
	v_and_b32_e32 v10, 7, v16
	v_lshl_or_b32 v8, v8, 9, 0x7c00
	v_cndmask_b32_e64 v12, 0x7c00, v12, s0
	v_cmp_lt_i32_e64 s0, 5, v10
	v_cmp_eq_u32_e64 s1, 3, v10
	v_and_or_b32 v6, 0x1ff, v7, v6
	v_cndmask_b32_e64 v10, v12, v8, s2
	v_lshrrev_b32_e32 v8, 2, v16
	s_or_b32 s0, s1, s0
	v_lshrrev_b32_e32 v17, 8, v7
	v_bfe_u32 v18, v7, 20, 11
	v_lshrrev_b32_e32 v12, 16, v9
	v_add_co_ci_u32_e64 v16, s0, 0, v8, s0
	v_cmp_ne_u32_e64 s0, 0, v4
	v_mul_f64 v[8:9], v[14:15], s[4:5]
	v_mad_u64_u32 v[14:15], null, s8, v65, 0
	v_and_or_b32 v10, 0x8000, v12, v10
	v_cndmask_b32_e64 v4, 0, 1, s0
	v_cmp_ne_u32_e64 s0, 0, v6
	v_and_b32_e32 v10, 0xffff, v10
	v_lshl_or_b32 v4, v4, 9, 0x7c00
	v_cndmask_b32_e64 v6, 0, 1, s0
	v_cmp_gt_i32_e64 s0, 31, v19
	v_and_or_b32 v17, 0xffe, v17, v6
	v_sub_nc_u32_e32 v6, 0x3f1, v18
	v_cndmask_b32_e64 v16, 0x7c00, v16, s0
	v_cmp_eq_u32_e64 s0, 0x40f, v19
	v_lshrrev_b32_e32 v19, 16, v13
	v_or_b32_e32 v20, 0x1000, v17
	v_med3_i32 v6, v6, 0, 13
	v_add_nc_u32_e32 v18, 0xfffffc10, v18
	v_cndmask_b32_e64 v16, v16, v4, s0
	v_mov_b32_e32 v4, v15
	v_mul_f16_sdwa v12, v66, v19 dst_sel:DWORD dst_unused:UNUSED_PAD src0_sel:WORD_1 src1_sel:DWORD
	v_lshrrev_b32_e32 v21, v6, v20
	v_bfe_u32 v22, v9, 20, 11
	v_and_or_b32 v16, 0x8000, v5, v16
	v_mad_u64_u32 v[4:5], null, s9, v65, v[4:5]
	v_lshlrev_b32_e32 v6, v6, v21
	v_fmac_f16_e32 v12, v66, v13
	v_and_or_b32 v5, 0x1ff, v9, v8
	v_lshl_or_b32 v10, v16, 16, v10
	v_cmp_ne_u32_e64 s0, v6, v20
	v_cvt_f32_f16_e32 v6, v12
	v_lshrrev_b32_e32 v20, 8, v9
	v_mov_b32_e32 v15, v4
	v_lshrrev_b32_e32 v9, 16, v9
	v_cndmask_b32_e64 v8, 0, 1, s0
	v_cmp_ne_u32_e64 s0, 0, v5
	v_cvt_f64_f32_e32 v[5:6], v6
	v_lshlrev_b64 v[14:15], 2, v[14:15]
	v_or_b32_e32 v4, v21, v8
	v_cndmask_b32_e64 v12, 0, 1, s0
	v_lshl_or_b32 v8, v18, 12, v17
	v_cmp_gt_i32_e64 s0, 1, v18
	v_and_or_b32 v12, 0xffe, v20, v12
	v_sub_nc_u32_e32 v20, 0x3f1, v22
	v_cndmask_b32_e64 v4, v8, v4, s0
	v_add_co_u32 v14, s0, v0, v14
	v_or_b32_e32 v8, 0x1000, v12
	v_med3_i32 v20, v20, 0, 13
	v_and_b32_e32 v16, 7, v4
	v_add_co_ci_u32_e64 v15, s0, v1, v15, s0
	v_lshrrev_b32_e32 v4, 2, v4
	v_lshrrev_b32_e32 v21, v20, v8
	v_cmp_lt_i32_e64 s0, 5, v16
	v_mul_f64 v[0:1], v[5:6], s[4:5]
	v_cmp_eq_u32_e64 s1, 3, v16
	v_mul_f16_sdwa v6, v66, v13 dst_sel:DWORD dst_unused:UNUSED_PAD src0_sel:WORD_1 src1_sel:DWORD
	v_lshlrev_b32_e32 v20, v20, v21
	s_or_b32 s0, s1, s0
	v_fma_f16 v6, v66, v19, -v6
	v_cmp_ne_u32_e64 s2, v20, v8
	v_add_co_ci_u32_e64 v4, s0, 0, v4, s0
	v_add_nc_u32_e32 v8, 0xfffffc10, v22
	v_cmp_ne_u32_e64 s0, 0, v17
	v_cndmask_b32_e64 v5, 0, 1, s2
	v_lshl_or_b32 v13, v8, 12, v12
	v_cndmask_b32_e64 v16, 0, 1, s0
	v_or_b32_e32 v5, v21, v5
	v_cmp_gt_i32_e64 s0, 1, v8
	v_and_or_b32 v0, 0x1ff, v1, v0
	v_lshl_or_b32 v16, v16, 9, 0x7c00
	v_cndmask_b32_e64 v13, v13, v5, s0
	v_cvt_f32_f16_e32 v5, v6
	v_cmp_gt_i32_e64 s0, 31, v18
	v_cmp_ne_u32_e64 s1, 0, v0
	v_bfe_u32 v19, v1, 20, 11
	v_and_b32_e32 v17, 7, v13
	v_lshrrev_b32_e32 v13, 2, v13
	v_cndmask_b32_e64 v6, 0x7c00, v4, s0
	v_cvt_f64_f32_e32 v[4:5], v5
	v_cmp_eq_u32_e64 s0, 0x40f, v18
	v_cndmask_b32_e64 v0, 0, 1, s1
	v_cmp_eq_u32_e64 s1, 3, v17
	v_lshrrev_b32_e32 v18, 16, v7
	v_lshrrev_b32_e32 v7, 16, v11
	v_cndmask_b32_e64 v16, v6, v16, s0
	v_lshrrev_b32_e32 v6, 8, v1
	v_cmp_lt_i32_e64 s0, 5, v17
	v_and_or_b32 v17, 0xffe, v6, v0
	v_sub_nc_u32_e32 v0, 0x3f1, v19
	s_or_b32 s0, s1, s0
	v_mul_f16_sdwa v6, v64, v7 dst_sel:DWORD dst_unused:UNUSED_PAD src0_sel:WORD_1 src1_sel:DWORD
	v_add_co_ci_u32_e64 v13, s0, 0, v13, s0
	v_or_b32_e32 v20, 0x1000, v17
	v_med3_i32 v0, v0, 0, 13
	v_cmp_ne_u32_e64 s0, 0, v12
	v_fmac_f16_e32 v6, v64, v11
	v_mul_f64 v[4:5], v[4:5], s[4:5]
	v_mul_f16_sdwa v11, v64, v11 dst_sel:DWORD dst_unused:UNUSED_PAD src0_sel:WORD_1 src1_sel:DWORD
	v_lshrrev_b32_e32 v21, v0, v20
	v_cndmask_b32_e64 v12, 0, 1, s0
	v_cmp_gt_i32_e64 s0, 31, v8
	v_cvt_f32_f16_e32 v6, v6
	v_fma_f16 v11, v64, v7, -v11
	v_lshlrev_b32_e32 v0, v0, v21
	v_lshl_or_b32 v12, v12, 9, 0x7c00
	v_cndmask_b32_e64 v13, 0x7c00, v13, s0
	v_cmp_eq_u32_e64 s0, 0x40f, v8
	v_cvt_f64_f32_e32 v[6:7], v6
	v_cvt_f32_f16_e32 v11, v11
	v_cndmask_b32_e64 v8, v13, v12, s0
	v_cmp_ne_u32_e64 s0, v0, v20
	v_add_nc_u32_e32 v12, 0xfffffc10, v19
	v_and_or_b32 v13, 0x8000, v18, v16
	v_and_or_b32 v16, 0x8000, v9, v8
	v_cndmask_b32_e64 v0, 0, 1, s0
	v_cvt_f64_f32_e32 v[8:9], v11
	v_lshl_or_b32 v11, v12, 12, v17
	v_and_or_b32 v4, 0x1ff, v5, v4
	v_cmp_gt_i32_e64 s0, 1, v12
	v_or_b32_e32 v0, v21, v0
	v_bfe_u32 v18, v5, 20, 11
	v_and_b32_e32 v13, 0xffff, v13
	v_cndmask_b32_e64 v11, v11, v0, s0
	v_cmp_ne_u32_e64 s0, 0, v4
	v_lshrrev_b32_e32 v4, 8, v5
	v_mul_f64 v[6:7], v[6:7], s[4:5]
	v_lshrrev_b32_e32 v5, 16, v5
	v_and_b32_e32 v19, 7, v11
	v_cndmask_b32_e64 v0, 0, 1, s0
	v_lshrrev_b32_e32 v11, 2, v11
	v_cmp_lt_i32_e64 s0, 5, v19
	v_and_or_b32 v20, 0xffe, v4, v0
	v_sub_nc_u32_e32 v4, 0x3f1, v18
	v_cmp_eq_u32_e64 s1, 3, v19
	v_mov_b32_e32 v0, v3
	v_add_nc_u32_e32 v18, 0xfffffc10, v18
	v_or_b32_e32 v19, 0x1000, v20
	v_med3_i32 v21, v4, 0, 13
	v_mul_f64 v[3:4], v[8:9], s[4:5]
	s_or_b32 s0, s1, s0
	v_mad_u64_u32 v[8:9], null, 0xe0, s9, v[0:1]
	v_add_co_ci_u32_e64 v9, s0, 0, v11, s0
	v_lshrrev_b32_e32 v0, v21, v19
	v_cmp_ne_u32_e64 s0, 0, v17
	v_and_or_b32 v6, 0x1ff, v7, v6
	v_lshrrev_b32_e32 v1, 16, v1
	v_lshlrev_b32_e32 v17, v21, v0
	v_cndmask_b32_e64 v11, 0, 1, s0
	v_cmp_gt_i32_e64 s0, 31, v12
	v_bfe_u32 v21, v7, 20, 11
	v_lshl_or_b32 v11, v11, 9, 0x7c00
	v_cndmask_b32_e64 v9, 0x7c00, v9, s0
	v_cmp_ne_u32_e64 s0, v17, v19
	v_lshrrev_b32_e32 v19, 8, v7
	v_and_or_b32 v3, 0x1ff, v4, v3
	v_lshrrev_b32_e32 v22, 8, v4
	v_cndmask_b32_e64 v17, 0, 1, s0
	v_cmp_ne_u32_e64 s0, 0, v6
	v_bfe_u32 v23, v4, 20, 11
	v_lshrrev_b32_e32 v4, 16, v4
	v_or_b32_e32 v0, v0, v17
	v_cndmask_b32_e64 v6, 0, 1, s0
	v_cmp_ne_u32_e64 s0, 0, v3
	v_lshl_or_b32 v17, v18, 12, v20
	v_and_or_b32 v6, 0xffe, v19, v6
	v_sub_nc_u32_e32 v19, 0x3f1, v21
	v_cndmask_b32_e64 v3, 0, 1, s0
	v_cmp_gt_i32_e64 s0, 1, v18
	v_med3_i32 v19, v19, 0, 13
	v_and_or_b32 v3, 0xffe, v22, v3
	v_cndmask_b32_e64 v0, v17, v0, s0
	v_or_b32_e32 v17, 0x1000, v6
	v_sub_nc_u32_e32 v22, 0x3f1, v23
	v_cmp_eq_u32_e64 s0, 0x40f, v12
	v_or_b32_e32 v28, 0x1000, v3
	v_and_b32_e32 v12, 7, v0
	v_lshrrev_b32_e32 v0, 2, v0
	v_med3_i32 v22, v22, 0, 13
	v_cndmask_b32_e64 v9, v9, v11, s0
	v_lshrrev_b32_e32 v11, v19, v17
	v_cmp_lt_i32_e64 s0, 5, v12
	v_cmp_eq_u32_e64 s1, 3, v12
	v_lshrrev_b32_e32 v12, v22, v28
	v_and_or_b32 v1, 0x8000, v1, v9
	v_lshlrev_b32_e32 v19, v19, v11
	s_or_b32 s0, s1, s0
	v_add_co_ci_u32_e64 v0, s0, 0, v0, s0
	v_cmp_ne_u32_e64 s2, v19, v17
	v_add_nc_u32_e32 v19, 0xfffffc10, v21
	v_lshlrev_b32_e32 v21, v22, v12
	v_add_nc_u32_e32 v22, 0xfffffc10, v23
	v_and_b32_e32 v1, 0xffff, v1
	v_cndmask_b32_e64 v17, 0, 1, s2
	v_cmp_ne_u32_e64 s0, v21, v28
	v_or_b32_e32 v11, v11, v17
	v_lshl_or_b32 v17, v19, 12, v6
	v_cndmask_b32_e64 v21, 0, 1, s0
	v_cmp_ne_u32_e64 s0, 0, v20
	v_or_b32_e32 v12, v12, v21
	v_cndmask_b32_e64 v20, 0, 1, s0
	v_cmp_gt_i32_e64 s0, 1, v19
	v_lshl_or_b32 v20, v20, 9, 0x7c00
	v_cndmask_b32_e64 v11, v17, v11, s0
	v_cmp_gt_i32_e64 s0, 31, v18
	v_lshl_or_b32 v17, v22, 12, v3
	v_and_b32_e32 v21, 7, v11
	v_cndmask_b32_e64 v0, 0x7c00, v0, s0
	v_cmp_gt_i32_e64 s0, 1, v22
	v_cmp_eq_u32_e64 s1, 3, v21
	v_cndmask_b32_e64 v12, v17, v12, s0
	v_cmp_eq_u32_e64 s0, 0x40f, v18
	v_and_b32_e32 v9, 7, v12
	v_cndmask_b32_e64 v0, v0, v20, s0
	v_cmp_lt_i32_e64 s0, 5, v21
	v_cmp_lt_i32_e64 s2, 5, v9
	v_and_or_b32 v0, 0x8000, v5, v0
	v_lshrrev_b32_e32 v5, 2, v11
	s_or_b32 s0, s1, s0
	v_cmp_eq_u32_e64 s3, 3, v9
	v_lshrrev_b32_e32 v9, 2, v12
	v_add_co_ci_u32_e64 v5, s0, 0, v5, s0
	v_cmp_ne_u32_e64 s0, 0, v6
	v_cndmask_b32_e64 v6, 0, 1, s0
	s_or_b32 s0, s3, s2
	v_add_co_ci_u32_e64 v9, s0, 0, v9, s0
	v_cmp_ne_u32_e64 s0, 0, v3
	v_lshl_or_b32 v6, v6, 9, 0x7c00
	v_cndmask_b32_e64 v3, 0, 1, s0
	v_cmp_gt_i32_e64 s0, 31, v19
	v_lshl_or_b32 v3, v3, 9, 0x7c00
	v_cndmask_b32_e64 v5, 0x7c00, v5, s0
	v_cmp_gt_i32_e64 s0, 31, v22
	v_cndmask_b32_e64 v9, 0x7c00, v9, s0
	v_cmp_eq_u32_e64 s0, 0x40f, v19
	v_cndmask_b32_e64 v5, v5, v6, s0
	v_lshrrev_b32_e32 v6, 16, v7
	v_cmp_eq_u32_e64 s0, 0x40f, v22
	v_and_or_b32 v5, 0x8000, v6, v5
	v_cndmask_b32_e64 v7, v9, v3, s0
	v_mov_b32_e32 v3, v8
	v_lshl_or_b32 v8, v0, 16, v1
	v_lshl_or_b32 v6, v16, 16, v13
	v_and_b32_e32 v1, 0xffff, v5
	v_and_or_b32 v0, 0x8000, v4, v7
	v_add_co_u32 v4, s0, v2, s10
	v_add_co_ci_u32_e64 v5, s0, s11, v3, s0
	v_lshl_or_b32 v7, v0, 16, v1
	v_add_co_u32 v0, s0, v4, s6
	v_add_co_ci_u32_e64 v1, s0, s7, v5, s0
	global_store_dword v[14:15], v10, off
	global_store_dword v[2:3], v6, off
	;; [unrolled: 1-line block ×4, first 2 shown]
	s_and_b32 exec_lo, exec_lo, vcc_lo
	s_cbranch_execz .LBB0_31
; %bb.30:
	global_load_dword v2, v[26:27], off offset:192
	ds_read_b32 v3, v63 offset:2240
	ds_read_b32 v6, v63 offset:4592
	s_waitcnt lgkmcnt(1)
	v_lshrrev_b32_e32 v4, 16, v3
	s_waitcnt vmcnt(0)
	v_mul_f16_sdwa v5, v4, v2 dst_sel:DWORD dst_unused:UNUSED_PAD src0_sel:DWORD src1_sel:WORD_1
	v_mul_f16_sdwa v7, v3, v2 dst_sel:DWORD dst_unused:UNUSED_PAD src0_sel:DWORD src1_sel:WORD_1
	v_fmac_f16_e32 v5, v3, v2
	v_fma_f16 v2, v2, v4, -v7
	v_cvt_f32_f16_e32 v3, v5
	v_cvt_f32_f16_e32 v4, v2
	v_cvt_f64_f32_e32 v[2:3], v3
	v_cvt_f64_f32_e32 v[4:5], v4
	v_mul_f64 v[2:3], v[2:3], s[4:5]
	v_mul_f64 v[4:5], v[4:5], s[4:5]
	v_and_or_b32 v2, 0x1ff, v3, v2
	v_and_or_b32 v4, 0x1ff, v5, v4
	v_lshrrev_b32_e32 v7, 8, v3
	v_bfe_u32 v8, v3, 20, 11
	v_lshrrev_b32_e32 v9, 8, v5
	v_cmp_ne_u32_e32 vcc_lo, 0, v2
	v_bfe_u32 v10, v5, 20, 11
	v_lshrrev_b32_e32 v3, 16, v3
	v_sub_nc_u32_e32 v11, 0x3f1, v8
	v_add_nc_u32_e32 v8, 0xfffffc10, v8
	v_cndmask_b32_e64 v2, 0, 1, vcc_lo
	v_cmp_ne_u32_e32 vcc_lo, 0, v4
	v_lshrrev_b32_e32 v5, 16, v5
	v_and_or_b32 v2, 0xffe, v7, v2
	v_cndmask_b32_e64 v4, 0, 1, vcc_lo
	v_sub_nc_u32_e32 v7, 0x3f1, v10
	v_add_nc_u32_e32 v10, 0xfffffc10, v10
	v_and_or_b32 v4, 0xffe, v9, v4
	v_med3_i32 v9, v11, 0, 13
	v_or_b32_e32 v11, 0x1000, v2
	v_med3_i32 v7, v7, 0, 13
	v_or_b32_e32 v12, 0x1000, v4
	v_lshrrev_b32_e32 v13, v9, v11
	v_lshrrev_b32_e32 v14, v7, v12
	v_lshlrev_b32_e32 v9, v9, v13
	v_lshlrev_b32_e32 v7, v7, v14
	v_cmp_ne_u32_e32 vcc_lo, v9, v11
	v_lshl_or_b32 v11, v8, 12, v2
	v_cndmask_b32_e64 v9, 0, 1, vcc_lo
	v_cmp_ne_u32_e32 vcc_lo, v7, v12
	v_lshl_or_b32 v12, v10, 12, v4
	v_or_b32_e32 v9, v13, v9
	v_cndmask_b32_e64 v7, 0, 1, vcc_lo
	v_cmp_gt_i32_e32 vcc_lo, 1, v8
	v_or_b32_e32 v7, v14, v7
	v_cndmask_b32_e32 v9, v11, v9, vcc_lo
	v_cmp_gt_i32_e32 vcc_lo, 1, v10
	v_and_b32_e32 v11, 7, v9
	v_cndmask_b32_e32 v7, v12, v7, vcc_lo
	v_cmp_ne_u32_e32 vcc_lo, 0, v2
	v_lshrrev_b32_e32 v9, 2, v9
	v_cmp_eq_u32_e64 s0, 3, v11
	v_and_b32_e32 v12, 7, v7
	v_cndmask_b32_e64 v2, 0, 1, vcc_lo
	v_cmp_ne_u32_e32 vcc_lo, 0, v4
	v_lshrrev_b32_e32 v7, 2, v7
	v_cmp_lt_i32_e64 s1, 5, v12
	v_cmp_eq_u32_e64 s2, 3, v12
	v_cndmask_b32_e64 v4, 0, 1, vcc_lo
	v_cmp_lt_i32_e32 vcc_lo, 5, v11
	v_lshl_or_b32 v2, v2, 9, 0x7c00
	v_lshl_or_b32 v4, v4, 9, 0x7c00
	s_or_b32 vcc_lo, s0, vcc_lo
	v_add_co_ci_u32_e32 v9, vcc_lo, 0, v9, vcc_lo
	s_or_b32 vcc_lo, s2, s1
	v_add_co_ci_u32_e32 v7, vcc_lo, 0, v7, vcc_lo
	v_cmp_gt_i32_e32 vcc_lo, 31, v8
	v_cndmask_b32_e32 v9, 0x7c00, v9, vcc_lo
	v_cmp_gt_i32_e32 vcc_lo, 31, v10
	v_cndmask_b32_e32 v7, 0x7c00, v7, vcc_lo
	v_cmp_eq_u32_e32 vcc_lo, 0x40f, v8
	v_cndmask_b32_e32 v2, v9, v2, vcc_lo
	v_cmp_eq_u32_e32 vcc_lo, 0x40f, v10
	v_and_or_b32 v2, 0x8000, v3, v2
	v_cndmask_b32_e32 v4, v7, v4, vcc_lo
	v_add_co_u32 v0, vcc_lo, v0, s10
	v_add_co_ci_u32_e32 v1, vcc_lo, s11, v1, vcc_lo
	v_and_or_b32 v3, 0x8000, v5, v4
	v_and_b32_e32 v2, 0xffff, v2
	v_lshl_or_b32 v2, v3, 16, v2
	s_waitcnt lgkmcnt(0)
	v_lshrrev_b32_e32 v3, 16, v6
	global_store_dword v[0:1], v2, off
	global_load_dword v2, v[24:25], off offset:496
	s_waitcnt vmcnt(0)
	v_mul_f16_sdwa v4, v3, v2 dst_sel:DWORD dst_unused:UNUSED_PAD src0_sel:DWORD src1_sel:WORD_1
	v_mul_f16_sdwa v5, v6, v2 dst_sel:DWORD dst_unused:UNUSED_PAD src0_sel:DWORD src1_sel:WORD_1
	v_fmac_f16_e32 v4, v6, v2
	v_fma_f16 v2, v2, v3, -v5
	v_cvt_f32_f16_e32 v3, v4
	v_cvt_f32_f16_e32 v4, v2
	v_cvt_f64_f32_e32 v[2:3], v3
	v_cvt_f64_f32_e32 v[4:5], v4
	v_mul_f64 v[2:3], v[2:3], s[4:5]
	v_mul_f64 v[4:5], v[4:5], s[4:5]
	v_and_or_b32 v2, 0x1ff, v3, v2
	v_and_or_b32 v4, 0x1ff, v5, v4
	v_lshrrev_b32_e32 v6, 8, v3
	v_bfe_u32 v7, v3, 20, 11
	v_lshrrev_b32_e32 v8, 8, v5
	v_cmp_ne_u32_e32 vcc_lo, 0, v2
	v_bfe_u32 v9, v5, 20, 11
	v_lshrrev_b32_e32 v3, 16, v3
	v_sub_nc_u32_e32 v10, 0x3f1, v7
	v_add_nc_u32_e32 v7, 0xfffffc10, v7
	v_cndmask_b32_e64 v2, 0, 1, vcc_lo
	v_cmp_ne_u32_e32 vcc_lo, 0, v4
	v_lshrrev_b32_e32 v5, 16, v5
	v_and_or_b32 v2, 0xffe, v6, v2
	v_cndmask_b32_e64 v4, 0, 1, vcc_lo
	v_sub_nc_u32_e32 v6, 0x3f1, v9
	v_add_nc_u32_e32 v9, 0xfffffc10, v9
	v_and_or_b32 v4, 0xffe, v8, v4
	v_med3_i32 v8, v10, 0, 13
	v_or_b32_e32 v10, 0x1000, v2
	v_med3_i32 v6, v6, 0, 13
	v_or_b32_e32 v11, 0x1000, v4
	v_lshrrev_b32_e32 v12, v8, v10
	v_lshrrev_b32_e32 v13, v6, v11
	v_lshlrev_b32_e32 v8, v8, v12
	v_lshlrev_b32_e32 v6, v6, v13
	v_cmp_ne_u32_e32 vcc_lo, v8, v10
	v_lshl_or_b32 v10, v7, 12, v2
	v_cndmask_b32_e64 v8, 0, 1, vcc_lo
	v_cmp_ne_u32_e32 vcc_lo, v6, v11
	v_lshl_or_b32 v11, v9, 12, v4
	v_or_b32_e32 v8, v12, v8
	v_cndmask_b32_e64 v6, 0, 1, vcc_lo
	v_cmp_gt_i32_e32 vcc_lo, 1, v7
	v_or_b32_e32 v6, v13, v6
	v_cndmask_b32_e32 v8, v10, v8, vcc_lo
	v_cmp_gt_i32_e32 vcc_lo, 1, v9
	v_and_b32_e32 v10, 7, v8
	v_cndmask_b32_e32 v6, v11, v6, vcc_lo
	v_cmp_ne_u32_e32 vcc_lo, 0, v2
	v_lshrrev_b32_e32 v8, 2, v8
	v_cmp_eq_u32_e64 s0, 3, v10
	v_and_b32_e32 v11, 7, v6
	v_cndmask_b32_e64 v2, 0, 1, vcc_lo
	v_cmp_ne_u32_e32 vcc_lo, 0, v4
	v_lshrrev_b32_e32 v6, 2, v6
	v_cmp_lt_i32_e64 s1, 5, v11
	v_cmp_eq_u32_e64 s2, 3, v11
	v_cndmask_b32_e64 v4, 0, 1, vcc_lo
	v_cmp_lt_i32_e32 vcc_lo, 5, v10
	v_lshl_or_b32 v2, v2, 9, 0x7c00
	v_lshl_or_b32 v4, v4, 9, 0x7c00
	s_or_b32 vcc_lo, s0, vcc_lo
	v_add_co_ci_u32_e32 v8, vcc_lo, 0, v8, vcc_lo
	s_or_b32 vcc_lo, s2, s1
	v_add_co_ci_u32_e32 v6, vcc_lo, 0, v6, vcc_lo
	v_cmp_gt_i32_e32 vcc_lo, 31, v7
	v_cndmask_b32_e32 v8, 0x7c00, v8, vcc_lo
	v_cmp_gt_i32_e32 vcc_lo, 31, v9
	v_cndmask_b32_e32 v6, 0x7c00, v6, vcc_lo
	v_cmp_eq_u32_e32 vcc_lo, 0x40f, v7
	v_cndmask_b32_e32 v2, v8, v2, vcc_lo
	v_cmp_eq_u32_e32 vcc_lo, 0x40f, v9
	v_and_or_b32 v2, 0x8000, v3, v2
	v_cndmask_b32_e32 v4, v6, v4, vcc_lo
	v_add_co_u32 v0, vcc_lo, v0, s6
	v_add_co_ci_u32_e32 v1, vcc_lo, s7, v1, vcc_lo
	v_and_or_b32 v3, 0x8000, v5, v4
	v_and_b32_e32 v2, 0xffff, v2
	v_lshl_or_b32 v2, v3, 16, v2
	global_store_dword v[0:1], v2, off
.LBB0_31:
	s_endpgm
	.section	.rodata,"a",@progbits
	.p2align	6, 0x0
	.amdhsa_kernel bluestein_single_fwd_len1176_dim1_half_op_CI_CI
		.amdhsa_group_segment_fixed_size 4704
		.amdhsa_private_segment_fixed_size 0
		.amdhsa_kernarg_size 104
		.amdhsa_user_sgpr_count 6
		.amdhsa_user_sgpr_private_segment_buffer 1
		.amdhsa_user_sgpr_dispatch_ptr 0
		.amdhsa_user_sgpr_queue_ptr 0
		.amdhsa_user_sgpr_kernarg_segment_ptr 1
		.amdhsa_user_sgpr_dispatch_id 0
		.amdhsa_user_sgpr_flat_scratch_init 0
		.amdhsa_user_sgpr_private_segment_size 0
		.amdhsa_wavefront_size32 1
		.amdhsa_uses_dynamic_stack 0
		.amdhsa_system_sgpr_private_segment_wavefront_offset 0
		.amdhsa_system_sgpr_workgroup_id_x 1
		.amdhsa_system_sgpr_workgroup_id_y 0
		.amdhsa_system_sgpr_workgroup_id_z 0
		.amdhsa_system_sgpr_workgroup_info 0
		.amdhsa_system_vgpr_workitem_id 0
		.amdhsa_next_free_vgpr 200
		.amdhsa_next_free_sgpr 18
		.amdhsa_reserve_vcc 1
		.amdhsa_reserve_flat_scratch 0
		.amdhsa_float_round_mode_32 0
		.amdhsa_float_round_mode_16_64 0
		.amdhsa_float_denorm_mode_32 3
		.amdhsa_float_denorm_mode_16_64 3
		.amdhsa_dx10_clamp 1
		.amdhsa_ieee_mode 1
		.amdhsa_fp16_overflow 0
		.amdhsa_workgroup_processor_mode 1
		.amdhsa_memory_ordered 1
		.amdhsa_forward_progress 0
		.amdhsa_shared_vgpr_count 0
		.amdhsa_exception_fp_ieee_invalid_op 0
		.amdhsa_exception_fp_denorm_src 0
		.amdhsa_exception_fp_ieee_div_zero 0
		.amdhsa_exception_fp_ieee_overflow 0
		.amdhsa_exception_fp_ieee_underflow 0
		.amdhsa_exception_fp_ieee_inexact 0
		.amdhsa_exception_int_div_zero 0
	.end_amdhsa_kernel
	.text
.Lfunc_end0:
	.size	bluestein_single_fwd_len1176_dim1_half_op_CI_CI, .Lfunc_end0-bluestein_single_fwd_len1176_dim1_half_op_CI_CI
                                        ; -- End function
	.section	.AMDGPU.csdata,"",@progbits
; Kernel info:
; codeLenInByte = 36668
; NumSgprs: 20
; NumVgprs: 200
; ScratchSize: 0
; MemoryBound: 0
; FloatMode: 240
; IeeeMode: 1
; LDSByteSize: 4704 bytes/workgroup (compile time only)
; SGPRBlocks: 2
; VGPRBlocks: 24
; NumSGPRsForWavesPerEU: 20
; NumVGPRsForWavesPerEU: 200
; Occupancy: 4
; WaveLimiterHint : 1
; COMPUTE_PGM_RSRC2:SCRATCH_EN: 0
; COMPUTE_PGM_RSRC2:USER_SGPR: 6
; COMPUTE_PGM_RSRC2:TRAP_HANDLER: 0
; COMPUTE_PGM_RSRC2:TGID_X_EN: 1
; COMPUTE_PGM_RSRC2:TGID_Y_EN: 0
; COMPUTE_PGM_RSRC2:TGID_Z_EN: 0
; COMPUTE_PGM_RSRC2:TIDIG_COMP_CNT: 0
	.text
	.p2alignl 6, 3214868480
	.fill 48, 4, 3214868480
	.type	__hip_cuid_4d3aaf1bcbe7974f,@object ; @__hip_cuid_4d3aaf1bcbe7974f
	.section	.bss,"aw",@nobits
	.globl	__hip_cuid_4d3aaf1bcbe7974f
__hip_cuid_4d3aaf1bcbe7974f:
	.byte	0                               ; 0x0
	.size	__hip_cuid_4d3aaf1bcbe7974f, 1

	.ident	"AMD clang version 19.0.0git (https://github.com/RadeonOpenCompute/llvm-project roc-6.4.0 25133 c7fe45cf4b819c5991fe208aaa96edf142730f1d)"
	.section	".note.GNU-stack","",@progbits
	.addrsig
	.addrsig_sym __hip_cuid_4d3aaf1bcbe7974f
	.amdgpu_metadata
---
amdhsa.kernels:
  - .args:
      - .actual_access:  read_only
        .address_space:  global
        .offset:         0
        .size:           8
        .value_kind:     global_buffer
      - .actual_access:  read_only
        .address_space:  global
        .offset:         8
        .size:           8
        .value_kind:     global_buffer
      - .actual_access:  read_only
        .address_space:  global
        .offset:         16
        .size:           8
        .value_kind:     global_buffer
      - .actual_access:  read_only
        .address_space:  global
        .offset:         24
        .size:           8
        .value_kind:     global_buffer
      - .actual_access:  read_only
        .address_space:  global
        .offset:         32
        .size:           8
        .value_kind:     global_buffer
      - .offset:         40
        .size:           8
        .value_kind:     by_value
      - .address_space:  global
        .offset:         48
        .size:           8
        .value_kind:     global_buffer
      - .address_space:  global
        .offset:         56
        .size:           8
        .value_kind:     global_buffer
      - .address_space:  global
        .offset:         64
        .size:           8
        .value_kind:     global_buffer
      - .address_space:  global
        .offset:         72
        .size:           8
        .value_kind:     global_buffer
      - .offset:         80
        .size:           4
        .value_kind:     by_value
      - .address_space:  global
        .offset:         88
        .size:           8
        .value_kind:     global_buffer
      - .address_space:  global
        .offset:         96
        .size:           8
        .value_kind:     global_buffer
    .group_segment_fixed_size: 4704
    .kernarg_segment_align: 8
    .kernarg_segment_size: 104
    .language:       OpenCL C
    .language_version:
      - 2
      - 0
    .max_flat_workgroup_size: 56
    .name:           bluestein_single_fwd_len1176_dim1_half_op_CI_CI
    .private_segment_fixed_size: 0
    .sgpr_count:     20
    .sgpr_spill_count: 0
    .symbol:         bluestein_single_fwd_len1176_dim1_half_op_CI_CI.kd
    .uniform_work_group_size: 1
    .uses_dynamic_stack: false
    .vgpr_count:     200
    .vgpr_spill_count: 0
    .wavefront_size: 32
    .workgroup_processor_mode: 1
amdhsa.target:   amdgcn-amd-amdhsa--gfx1030
amdhsa.version:
  - 1
  - 2
...

	.end_amdgpu_metadata
